;; amdgpu-corpus repo=ROCm/rocFFT kind=compiled arch=gfx906 opt=O3
	.text
	.amdgcn_target "amdgcn-amd-amdhsa--gfx906"
	.amdhsa_code_object_version 6
	.protected	bluestein_single_fwd_len728_dim1_sp_op_CI_CI ; -- Begin function bluestein_single_fwd_len728_dim1_sp_op_CI_CI
	.globl	bluestein_single_fwd_len728_dim1_sp_op_CI_CI
	.p2align	8
	.type	bluestein_single_fwd_len728_dim1_sp_op_CI_CI,@function
bluestein_single_fwd_len728_dim1_sp_op_CI_CI: ; @bluestein_single_fwd_len728_dim1_sp_op_CI_CI
; %bb.0:
	s_load_dwordx4 s[0:3], s[4:5], 0x28
	v_mul_u32_u24_e32 v1, 0x277, v0
	v_add_u32_sdwa v50, s6, v1 dst_sel:DWORD dst_unused:UNUSED_PAD src0_sel:DWORD src1_sel:WORD_1
	v_mov_b32_e32 v51, 0
	s_waitcnt lgkmcnt(0)
	v_cmp_gt_u64_e32 vcc, s[0:1], v[50:51]
	s_and_saveexec_b64 s[0:1], vcc
	s_cbranch_execz .LBB0_23
; %bb.1:
	s_load_dwordx2 s[12:13], s[4:5], 0x0
	s_load_dwordx2 s[14:15], s[4:5], 0x38
	s_movk_i32 s0, 0x68
	v_mul_lo_u16_sdwa v1, v1, s0 dst_sel:DWORD dst_unused:UNUSED_PAD src0_sel:WORD_1 src1_sel:DWORD
	v_sub_u16_e32 v56, v0, v1
	v_cmp_gt_u16_e64 s[0:1], 56, v56
	v_lshlrev_b32_e32 v55, 3, v56
	s_and_saveexec_b64 s[6:7], s[0:1]
	s_cbranch_execz .LBB0_3
; %bb.2:
	s_load_dwordx2 s[8:9], s[4:5], 0x18
	s_waitcnt lgkmcnt(0)
	v_mov_b32_e32 v32, s13
	v_or_b32_e32 v34, 0x1c0, v56
	s_load_dwordx4 s[8:11], s[8:9], 0x0
	s_waitcnt lgkmcnt(0)
	v_mad_u64_u32 v[0:1], s[16:17], s10, v50, 0
	v_mad_u64_u32 v[2:3], s[16:17], s8, v56, 0
	;; [unrolled: 1-line block ×5, first 2 shown]
	v_mov_b32_e32 v1, v4
	v_lshlrev_b64 v[0:1], 3, v[0:1]
	v_mov_b32_e32 v3, v5
	v_mov_b32_e32 v6, s3
	v_lshlrev_b64 v[2:3], 3, v[2:3]
	v_add_co_u32_e32 v37, vcc, s2, v0
	v_addc_co_u32_e32 v38, vcc, v6, v1, vcc
	v_add_co_u32_e32 v0, vcc, v37, v2
	s_mul_i32 s2, s9, 0x1c0
	s_mul_hi_u32 s3, s8, 0x1c0
	v_addc_co_u32_e32 v1, vcc, v38, v3, vcc
	s_add_i32 s3, s3, s2
	s_mul_i32 s2, s8, 0x1c0
	v_mov_b32_e32 v3, s3
	v_add_co_u32_e32 v2, vcc, s2, v0
	v_addc_co_u32_e32 v3, vcc, v1, v3, vcc
	v_mov_b32_e32 v5, s3
	v_add_co_u32_e32 v4, vcc, s2, v2
	v_addc_co_u32_e32 v5, vcc, v3, v5, vcc
	;; [unrolled: 3-line block ×3, first 2 shown]
	global_load_dwordx2 v[8:9], v[0:1], off
	global_load_dwordx2 v[10:11], v[2:3], off
	;; [unrolled: 1-line block ×4, first 2 shown]
	global_load_dwordx2 v[16:17], v55, s[12:13]
	global_load_dwordx2 v[18:19], v55, s[12:13] offset:448
	global_load_dwordx2 v[20:21], v55, s[12:13] offset:896
	;; [unrolled: 1-line block ×3, first 2 shown]
	v_mov_b32_e32 v1, s3
	v_add_co_u32_e32 v0, vcc, s2, v6
	v_addc_co_u32_e32 v1, vcc, v7, v1, vcc
	global_load_dwordx2 v[2:3], v[0:1], off
	v_mov_b32_e32 v4, s3
	v_add_co_u32_e32 v0, vcc, s2, v0
	v_addc_co_u32_e32 v1, vcc, v1, v4, vcc
	v_add_co_u32_e32 v45, vcc, s12, v55
	v_addc_co_u32_e32 v46, vcc, 0, v32, vcc
	global_load_dwordx2 v[4:5], v[0:1], off
	v_mov_b32_e32 v32, s3
	v_add_co_u32_e32 v0, vcc, s2, v0
	v_addc_co_u32_e32 v1, vcc, v1, v32, vcc
	global_load_dwordx2 v[6:7], v55, s[12:13] offset:1792
	global_load_dwordx2 v[24:25], v55, s[12:13] offset:2240
	;; [unrolled: 1-line block ×4, first 2 shown]
	global_load_dwordx2 v[32:33], v[0:1], off
	v_mov_b32_e32 v36, s3
	v_add_co_u32_e32 v0, vcc, s2, v0
	v_addc_co_u32_e32 v1, vcc, v1, v36, vcc
	s_waitcnt vmcnt(0)
	v_mad_u64_u32 v[34:35], s[10:11], s9, v34, v[31:32]
	global_load_dwordx2 v[35:36], v[0:1], off
	v_mov_b32_e32 v31, v34
	v_mov_b32_e32 v34, 0x380
	v_mad_u64_u32 v[0:1], s[10:11], s8, v34, v[0:1]
	v_lshlrev_b64 v[30:31], 3, v[30:31]
	s_mul_i32 s8, s9, 0x380
	v_add_co_u32_e32 v30, vcc, v37, v30
	v_addc_co_u32_e32 v31, vcc, v38, v31, vcc
	v_add_u32_e32 v1, s8, v1
	global_load_dwordx2 v[30:31], v[30:31], off
	s_nop 0
	global_load_dwordx2 v[37:38], v[0:1], off
	global_load_dwordx2 v[39:40], v55, s[12:13] offset:3584
	global_load_dwordx2 v[41:42], v55, s[12:13] offset:4032
	v_mov_b32_e32 v34, s3
	v_add_co_u32_e32 v0, vcc, s2, v0
	v_addc_co_u32_e32 v1, vcc, v1, v34, vcc
	s_movk_i32 s8, 0x1000
	v_add_co_u32_e32 v45, vcc, s8, v45
	v_addc_co_u32_e32 v46, vcc, 0, v46, vcc
	global_load_dwordx2 v[43:44], v[0:1], off
	v_add_co_u32_e32 v0, vcc, s2, v0
	v_addc_co_u32_e32 v1, vcc, v1, v34, vcc
	global_load_dwordx2 v[47:48], v[45:46], off offset:384
	global_load_dwordx2 v[51:52], v[0:1], off
	global_load_dwordx2 v[53:54], v[45:46], off offset:832
	v_add_co_u32_e32 v0, vcc, s2, v0
	v_addc_co_u32_e32 v1, vcc, v1, v34, vcc
	global_load_dwordx2 v[57:58], v[0:1], off
	global_load_dwordx2 v[59:60], v[45:46], off offset:1280
	v_mul_f32_e32 v0, v8, v17
	v_fma_f32 v1, v9, v16, -v0
	v_mul_f32_e32 v0, v9, v17
	v_fmac_f32_e32 v0, v8, v16
	v_mul_f32_e32 v8, v11, v19
	v_mul_f32_e32 v9, v10, v19
	v_fmac_f32_e32 v8, v10, v18
	v_fma_f32 v9, v11, v18, -v9
	ds_write2_b64 v55, v[0:1], v[8:9] offset1:56
	v_mul_f32_e32 v0, v12, v21
	v_mul_f32_e32 v10, v3, v7
	;; [unrolled: 1-line block ×3, first 2 shown]
	v_fma_f32 v1, v13, v20, -v0
	v_mul_f32_e32 v0, v13, v21
	v_mul_f32_e32 v8, v14, v23
	v_fmac_f32_e32 v10, v2, v6
	v_fma_f32 v11, v3, v6, -v7
	v_mul_f32_e32 v2, v5, v25
	v_mul_f32_e32 v3, v4, v25
	v_add_u32_e32 v34, 0x400, v55
	v_fmac_f32_e32 v0, v12, v20
	v_fma_f32 v9, v15, v22, -v8
	v_mul_f32_e32 v8, v15, v23
	v_fmac_f32_e32 v2, v4, v24
	v_fma_f32 v3, v5, v24, -v3
	v_fmac_f32_e32 v8, v14, v22
	ds_write2_b64 v34, v[10:11], v[2:3] offset0:96 offset1:152
	ds_write2_b64 v55, v[0:1], v[8:9] offset0:112 offset1:168
	v_mul_f32_e32 v0, v33, v27
	v_mul_f32_e32 v1, v32, v27
	v_fmac_f32_e32 v0, v32, v26
	v_fma_f32 v1, v33, v26, -v1
	v_add_u32_e32 v4, 0x800, v55
	s_waitcnt vmcnt(10)
	v_mul_f32_e32 v2, v36, v29
	v_mul_f32_e32 v3, v35, v29
	v_fmac_f32_e32 v2, v35, v28
	v_fma_f32 v3, v36, v28, -v3
	ds_write2_b64 v4, v[0:1], v[2:3] offset0:80 offset1:136
	s_waitcnt vmcnt(7)
	v_mul_f32_e32 v0, v31, v40
	v_mul_f32_e32 v1, v30, v40
	s_waitcnt vmcnt(6)
	v_mul_f32_e32 v2, v38, v42
	v_mul_f32_e32 v3, v37, v42
	v_fmac_f32_e32 v0, v30, v39
	v_fma_f32 v1, v31, v39, -v1
	v_fmac_f32_e32 v2, v37, v41
	v_fma_f32 v3, v38, v41, -v3
	ds_write2_b64 v4, v[0:1], v[2:3] offset0:192 offset1:248
	v_add_u32_e32 v4, 0x1000, v55
	s_waitcnt vmcnt(4)
	v_mul_f32_e32 v0, v44, v48
	v_mul_f32_e32 v1, v43, v48
	s_waitcnt vmcnt(2)
	v_mul_f32_e32 v2, v52, v54
	v_mul_f32_e32 v3, v51, v54
	v_fmac_f32_e32 v0, v43, v47
	v_fma_f32 v1, v44, v47, -v1
	v_fmac_f32_e32 v2, v51, v53
	v_fma_f32 v3, v52, v53, -v3
	ds_write2_b64 v4, v[0:1], v[2:3] offset0:48 offset1:104
	s_waitcnt vmcnt(0)
	v_mul_f32_e32 v0, v58, v60
	v_mul_f32_e32 v1, v57, v60
	v_fmac_f32_e32 v0, v57, v59
	v_fma_f32 v1, v58, v59, -v1
	ds_write_b64 v55, v[0:1] offset:5376
.LBB0_3:
	s_or_b64 exec, exec, s[6:7]
	s_load_dwordx2 s[2:3], s[4:5], 0x20
	s_load_dwordx2 s[8:9], s[4:5], 0x8
	v_mov_b32_e32 v8, 0
	v_mov_b32_e32 v9, 0
	s_waitcnt lgkmcnt(0)
	s_barrier
	s_waitcnt lgkmcnt(0)
                                        ; implicit-def: $vgpr14
                                        ; implicit-def: $vgpr20
                                        ; implicit-def: $vgpr28
                                        ; implicit-def: $vgpr32
                                        ; implicit-def: $vgpr26
                                        ; implicit-def: $vgpr18
	s_and_saveexec_b64 s[4:5], s[0:1]
	s_cbranch_execz .LBB0_5
; %bb.4:
	v_add_u32_e32 v0, 0x400, v55
	ds_read2_b64 v[8:11], v55 offset1:56
	ds_read2_b64 v[16:19], v55 offset0:112 offset1:168
	ds_read2_b64 v[24:27], v0 offset0:96 offset1:152
	v_add_u32_e32 v0, 0x800, v55
	ds_read2_b64 v[12:15], v0 offset0:80 offset1:136
	ds_read2_b64 v[20:23], v0 offset0:192 offset1:248
	v_add_u32_e32 v0, 0x1000, v55
	ds_read2_b64 v[28:31], v0 offset0:48 offset1:104
	ds_read_b64 v[32:33], v55 offset:5376
.LBB0_5:
	s_or_b64 exec, exec, s[4:5]
	s_waitcnt lgkmcnt(0)
	v_sub_f32_e32 v34, v11, v33
	v_mul_f32_e32 v36, 0xbeedf032, v34
	v_sub_f32_e32 v35, v17, v31
	v_add_f32_e32 v43, v32, v10
	v_mov_b32_e32 v0, v36
	v_mul_f32_e32 v37, 0xbf52af12, v35
	v_fmac_f32_e32 v0, 0x3f62ad3f, v43
	v_add_f32_e32 v46, v30, v16
	v_mov_b32_e32 v1, v37
	v_sub_f32_e32 v57, v10, v32
	v_add_f32_e32 v44, v33, v11
	v_add_f32_e32 v0, v0, v8
	v_fmac_f32_e32 v1, 0x3f116cb1, v46
	s_mov_b32 s5, 0x3f62ad3f
	v_mul_f32_e32 v38, 0xbeedf032, v57
	v_sub_f32_e32 v116, v16, v30
	v_add_f32_e32 v0, v1, v0
	v_fma_f32 v1, v44, s5, -v38
	s_mov_b32 s4, 0x3f116cb1
	v_add_f32_e32 v48, v31, v17
	v_mul_f32_e32 v39, 0xbf52af12, v116
	v_sub_f32_e32 v117, v19, v29
	v_add_f32_e32 v1, v1, v9
	v_fma_f32 v2, v48, s4, -v39
	v_mul_f32_e32 v40, 0xbf7e222b, v117
	v_add_f32_e32 v1, v2, v1
	v_add_f32_e32 v49, v28, v18
	v_mov_b32_e32 v2, v40
	v_sub_f32_e32 v118, v18, v28
	v_fmac_f32_e32 v2, 0x3df6dbef, v49
	s_mov_b32 s6, 0x3df6dbef
	v_add_f32_e32 v54, v29, v19
	v_mul_f32_e32 v41, 0xbf7e222b, v118
	v_sub_f32_e32 v119, v25, v23
	v_add_f32_e32 v0, v2, v0
	v_fma_f32 v2, v54, s6, -v41
	v_mul_f32_e32 v42, 0xbf6f5d39, v119
	v_add_f32_e32 v1, v2, v1
	v_add_f32_e32 v59, v22, v24
	v_mov_b32_e32 v2, v42
	v_sub_f32_e32 v123, v24, v22
	v_fmac_f32_e32 v2, 0xbeb58ec6, v59
	;; [unrolled: 12-line block ×3, first 2 shown]
	s_mov_b32 s10, 0xbf3f9e67
	v_add_f32_e32 v64, v21, v27
	v_mul_f32_e32 v53, 0xbf29c268, v125
	v_sub_f32_e32 v126, v13, v15
	v_add_f32_e32 v0, v2, v0
	v_fma_f32 v2, v64, s10, -v53
	v_mul_f32_e32 v58, 0xbe750f2a, v126
	v_add_f32_e32 v1, v2, v1
	v_add_f32_e32 v73, v14, v12
	v_mov_b32_e32 v2, v58
	v_sub_f32_e32 v127, v12, v14
	s_mov_b32 s11, 0xbf788fa5
	v_fmac_f32_e32 v2, 0xbf788fa5, v73
	v_add_f32_e32 v76, v15, v13
	v_mul_f32_e32 v61, 0xbe750f2a, v127
	v_add_f32_e32 v51, v2, v0
	v_fma_f32 v0, v76, s11, -v61
	v_mul_f32_e32 v63, 0xbf52af12, v34
	v_add_f32_e32 v52, v0, v1
	v_mov_b32_e32 v0, v63
	v_mul_f32_e32 v65, 0xbf6f5d39, v35
	v_fmac_f32_e32 v0, 0x3f116cb1, v43
	v_mov_b32_e32 v1, v65
	v_add_f32_e32 v0, v0, v8
	v_fmac_f32_e32 v1, 0xbeb58ec6, v46
	v_mul_f32_e32 v68, 0xbf52af12, v57
	v_add_f32_e32 v0, v1, v0
	v_fma_f32 v1, v44, s4, -v68
	v_mul_f32_e32 v70, 0xbf6f5d39, v116
	v_add_f32_e32 v1, v1, v9
	v_fma_f32 v2, v48, s7, -v70
	v_mul_f32_e32 v66, 0xbe750f2a, v117
	v_add_f32_e32 v1, v2, v1
	v_mov_b32_e32 v2, v66
	v_fmac_f32_e32 v2, 0xbf788fa5, v49
	v_mul_f32_e32 v72, 0xbe750f2a, v118
	v_add_f32_e32 v0, v2, v0
	v_fma_f32 v2, v54, s11, -v72
	v_mul_f32_e32 v67, 0x3f29c268, v119
	v_add_f32_e32 v1, v2, v1
	v_mov_b32_e32 v2, v67
	v_fmac_f32_e32 v2, 0xbf3f9e67, v59
	;; [unrolled: 7-line block ×4, first 2 shown]
	v_mul_f32_e32 v77, 0x3eedf032, v127
	v_mul_f32_e32 v78, 0xbf7e222b, v34
	v_fma_f32 v3, v76, s5, -v77
	v_add_f32_e32 v2, v2, v0
	v_mov_b32_e32 v0, v78
	v_mul_f32_e32 v79, 0xbe750f2a, v35
	v_add_f32_e32 v3, v3, v1
	v_fmac_f32_e32 v0, 0x3df6dbef, v43
	v_mov_b32_e32 v1, v79
	v_add_f32_e32 v0, v0, v8
	v_fmac_f32_e32 v1, 0xbf788fa5, v46
	v_mul_f32_e32 v80, 0x3f6f5d39, v117
	v_add_f32_e32 v0, v1, v0
	v_mov_b32_e32 v1, v80
	v_fmac_f32_e32 v1, 0xbeb58ec6, v49
	v_mul_f32_e32 v81, 0x3eedf032, v119
	v_add_f32_e32 v0, v1, v0
	v_mov_b32_e32 v1, v81
	;; [unrolled: 4-line block ×4, first 2 shown]
	v_fmac_f32_e32 v1, 0xbf3f9e67, v73
	v_mul_f32_e32 v84, 0xbf7e222b, v57
	v_add_f32_e32 v0, v1, v0
	v_fma_f32 v1, v44, s6, -v84
	v_mul_f32_e32 v85, 0xbe750f2a, v116
	v_add_f32_e32 v1, v1, v9
	v_fma_f32 v4, v48, s11, -v85
	v_mul_f32_e32 v86, 0x3f6f5d39, v118
	v_add_f32_e32 v1, v4, v1
	v_fma_f32 v4, v54, s7, -v86
	v_mul_f32_e32 v87, 0x3eedf032, v123
	v_add_f32_e32 v1, v4, v1
	v_fma_f32 v4, v60, s5, -v87
	v_mul_f32_e32 v88, 0xbf52af12, v125
	v_add_f32_e32 v1, v4, v1
	v_fma_f32 v4, v64, s4, -v88
	v_mul_f32_e32 v89, 0xbf29c268, v127
	v_add_f32_e32 v1, v4, v1
	v_fma_f32 v4, v76, s10, -v89
	v_mul_f32_e32 v90, 0xbf6f5d39, v34
	v_add_f32_e32 v1, v4, v1
	v_mov_b32_e32 v4, v90
	v_mul_f32_e32 v91, 0x3f29c268, v35
	v_fmac_f32_e32 v4, 0xbeb58ec6, v43
	v_mov_b32_e32 v5, v91
	v_add_f32_e32 v4, v4, v8
	v_fmac_f32_e32 v5, 0xbf3f9e67, v46
	v_mul_f32_e32 v96, 0xbf6f5d39, v57
	v_add_f32_e32 v4, v5, v4
	v_fma_f32 v5, v44, s7, -v96
	v_mul_f32_e32 v97, 0x3f29c268, v116
	v_add_f32_e32 v5, v5, v9
	v_fma_f32 v6, v48, s10, -v97
	v_mul_f32_e32 v92, 0x3eedf032, v117
	v_add_f32_e32 v5, v6, v5
	v_mov_b32_e32 v6, v92
	v_fmac_f32_e32 v6, 0x3f62ad3f, v49
	v_mul_f32_e32 v98, 0x3eedf032, v118
	v_add_f32_e32 v4, v6, v4
	v_fma_f32 v6, v54, s5, -v98
	v_mul_f32_e32 v93, 0xbf7e222b, v119
	v_add_f32_e32 v5, v6, v5
	v_mov_b32_e32 v6, v93
	v_fmac_f32_e32 v6, 0x3df6dbef, v59
	v_mul_f32_e32 v99, 0xbf7e222b, v123
	v_add_f32_e32 v4, v6, v4
	v_fma_f32 v6, v60, s6, -v99
	v_mul_f32_e32 v94, 0x3e750f2a, v124
	v_add_f32_e32 v5, v6, v5
	v_mov_b32_e32 v6, v94
	v_fmac_f32_e32 v6, 0xbf788fa5, v62
	v_mul_f32_e32 v100, 0x3e750f2a, v125
	v_add_f32_e32 v4, v6, v4
	v_fma_f32 v6, v64, s11, -v100
	v_mul_f32_e32 v95, 0x3f52af12, v126
	v_add_f32_e32 v5, v6, v5
	v_mov_b32_e32 v6, v95
	v_fmac_f32_e32 v6, 0x3f116cb1, v73
	v_mul_f32_e32 v101, 0x3f52af12, v127
	v_mul_f32_e32 v107, 0xbf29c268, v34
	v_fma_f32 v7, v76, s4, -v101
	v_add_f32_e32 v6, v6, v4
	v_mov_b32_e32 v4, v107
	v_mul_f32_e32 v106, 0x3f7e222b, v35
	v_add_f32_e32 v7, v7, v5
	v_fmac_f32_e32 v4, 0xbf3f9e67, v43
	v_mov_b32_e32 v5, v106
	v_add_f32_e32 v4, v4, v8
	v_fmac_f32_e32 v5, 0x3df6dbef, v46
	v_mul_f32_e32 v102, 0xbf52af12, v117
	v_add_f32_e32 v4, v5, v4
	v_mov_b32_e32 v5, v102
	v_fmac_f32_e32 v5, 0x3f116cb1, v49
	v_mul_f32_e32 v103, 0x3e750f2a, v119
	v_add_f32_e32 v4, v5, v4
	v_mov_b32_e32 v5, v103
	;; [unrolled: 4-line block ×4, first 2 shown]
	v_fmac_f32_e32 v5, 0xbeb58ec6, v73
	v_mul_f32_e32 v112, 0xbf29c268, v57
	v_add_f32_e32 v4, v5, v4
	v_fma_f32 v5, v44, s10, -v112
	v_mul_f32_e32 v113, 0x3f7e222b, v116
	v_add_f32_e32 v5, v5, v9
	v_fma_f32 v108, v48, s6, -v113
	;; [unrolled: 3-line block ×5, first 2 shown]
	v_add_f32_e32 v5, v108, v5
	v_mul_f32_e32 v108, 0xbf6f5d39, v127
	v_fma_f32 v114, v76, s7, -v108
	v_add_f32_e32 v5, v114, v5
	v_mul_f32_e32 v114, 0xbe750f2a, v34
	v_mov_b32_e32 v34, v114
	v_mul_f32_e32 v115, 0x3eedf032, v35
	v_fmac_f32_e32 v34, 0xbf788fa5, v43
	v_mov_b32_e32 v35, v115
	v_add_f32_e32 v34, v34, v8
	v_fmac_f32_e32 v35, 0x3f62ad3f, v46
	v_mul_f32_e32 v120, 0xbe750f2a, v57
	v_add_f32_e32 v34, v35, v34
	v_fma_f32 v35, v44, s11, -v120
	v_mul_f32_e32 v121, 0x3eedf032, v116
	v_add_f32_e32 v35, v35, v9
	v_fma_f32 v57, v48, s5, -v121
	v_mul_f32_e32 v116, 0xbf29c268, v117
	v_add_f32_e32 v35, v57, v35
	v_mov_b32_e32 v57, v116
	v_fmac_f32_e32 v57, 0xbf3f9e67, v49
	v_mul_f32_e32 v122, 0xbf29c268, v118
	v_add_f32_e32 v34, v57, v34
	v_fma_f32 v57, v54, s10, -v122
	v_mul_f32_e32 v117, 0x3f52af12, v119
	v_add_f32_e32 v35, v57, v35
	v_mov_b32_e32 v57, v117
	v_fmac_f32_e32 v57, 0x3f116cb1, v59
	v_mul_f32_e32 v123, 0x3f52af12, v123
	v_add_f32_e32 v34, v57, v34
	v_fma_f32 v57, v60, s4, -v123
	v_mul_f32_e32 v118, 0xbf6f5d39, v124
	v_add_f32_e32 v35, v57, v35
	v_mov_b32_e32 v57, v118
	v_fmac_f32_e32 v57, 0xbeb58ec6, v62
	v_mul_f32_e32 v124, 0xbf6f5d39, v125
	v_add_f32_e32 v34, v57, v34
	v_fma_f32 v57, v64, s7, -v124
	v_mul_f32_e32 v119, 0x3f7e222b, v126
	v_add_f32_e32 v35, v57, v35
	v_mul_f32_e32 v125, 0x3f7e222b, v127
	v_mov_b32_e32 v57, v119
	v_fmac_f32_e32 v57, 0x3df6dbef, v73
	v_fma_f32 v126, v76, s6, -v125
	v_add_f32_e32 v34, v57, v34
	v_add_f32_e32 v35, v126, v35
	v_mul_lo_u16_e32 v57, 13, v56
	s_barrier
	s_and_saveexec_b64 s[4:5], s[0:1]
	s_cbranch_execz .LBB0_7
; %bb.6:
	v_mul_f32_e32 v126, 0xbf788fa5, v44
	v_add_f32_e32 v120, v120, v126
	v_mul_f32_e32 v126, 0x3f62ad3f, v48
	v_add_f32_e32 v121, v121, v126
	v_add_f32_e32 v120, v120, v9
	;; [unrolled: 1-line block ×3, first 2 shown]
	v_mul_f32_e32 v121, 0xbf3f9e67, v54
	v_add_f32_e32 v121, v122, v121
	v_add_f32_e32 v120, v121, v120
	v_mul_f32_e32 v121, 0x3f116cb1, v60
	v_add_f32_e32 v121, v123, v121
	v_add_f32_e32 v120, v121, v120
	v_mul_f32_e32 v121, 0xbeb58ec6, v64
	v_add_f32_e32 v121, v124, v121
	v_mul_f32_e32 v124, 0xbf788fa5, v43
	v_sub_f32_e32 v114, v124, v114
	v_mul_f32_e32 v124, 0x3f62ad3f, v46
	v_sub_f32_e32 v115, v124, v115
	v_add_f32_e32 v114, v114, v8
	v_add_f32_e32 v114, v115, v114
	v_mul_f32_e32 v115, 0xbf3f9e67, v49
	v_sub_f32_e32 v115, v115, v116
	v_add_f32_e32 v114, v115, v114
	v_mul_f32_e32 v115, 0x3f116cb1, v59
	v_sub_f32_e32 v115, v115, v117
	;; [unrolled: 3-line block ×4, first 2 shown]
	v_mul_f32_e32 v123, 0x3f62ad3f, v44
	v_mul_f32_e32 v116, 0x3f116cb1, v44
	;; [unrolled: 1-line block ×3, first 2 shown]
	v_add_f32_e32 v114, v119, v114
	v_mul_f32_e32 v119, 0xbeb58ec6, v44
	v_mul_f32_e32 v44, 0xbf3f9e67, v44
	v_add_f32_e32 v44, v112, v44
	v_mul_f32_e32 v112, 0x3df6dbef, v48
	v_add_f32_e32 v112, v113, v112
	v_add_f32_e32 v44, v44, v9
	v_add_f32_e32 v44, v112, v44
	v_mul_f32_e32 v112, 0x3f116cb1, v54
	v_add_f32_e32 v111, v111, v112
	v_add_f32_e32 v44, v111, v44
	v_mul_f32_e32 v111, 0xbf788fa5, v60
	v_add_f32_e32 v120, v121, v120
	v_mul_f32_e32 v121, 0x3df6dbef, v76
	v_add_f32_e32 v110, v110, v111
	v_mul_f32_e32 v122, 0x3f62ad3f, v43
	v_add_f32_e32 v121, v125, v121
	v_mul_f32_e32 v124, 0x3f116cb1, v43
	v_mul_f32_e32 v117, 0x3df6dbef, v43
	v_mul_f32_e32 v125, 0xbeb58ec6, v43
	v_mul_f32_e32 v43, 0xbf3f9e67, v43
	v_add_f32_e32 v44, v110, v44
	v_mul_f32_e32 v110, 0x3f62ad3f, v64
	v_add_f32_e32 v115, v121, v120
	v_mul_f32_e32 v120, 0x3f116cb1, v46
	v_mul_f32_e32 v112, 0xbeb58ec6, v46
	v_add_f32_e32 v109, v109, v110
	v_mul_f32_e32 v110, 0xbf788fa5, v46
	v_sub_f32_e32 v43, v43, v107
	v_mul_f32_e32 v107, 0xbf3f9e67, v46
	v_mul_f32_e32 v46, 0x3df6dbef, v46
	v_sub_f32_e32 v46, v46, v106
	v_add_f32_e32 v43, v43, v8
	v_add_f32_e32 v43, v46, v43
	v_mul_f32_e32 v46, 0x3f116cb1, v49
	v_sub_f32_e32 v46, v46, v102
	v_add_f32_e32 v43, v46, v43
	v_mul_f32_e32 v46, 0xbf788fa5, v59
	v_sub_f32_e32 v46, v46, v103
	;; [unrolled: 3-line block ×3, first 2 shown]
	v_add_f32_e32 v44, v109, v44
	v_mul_f32_e32 v109, 0xbeb58ec6, v76
	v_add_f32_e32 v43, v46, v43
	v_mul_f32_e32 v46, 0xbeb58ec6, v73
	v_mul_f32_e32 v113, 0x3f116cb1, v48
	;; [unrolled: 1-line block ×3, first 2 shown]
	v_add_f32_e32 v108, v108, v109
	v_mul_f32_e32 v109, 0xbf788fa5, v48
	v_mul_f32_e32 v48, 0xbf3f9e67, v48
	v_sub_f32_e32 v46, v46, v105
	v_add_f32_e32 v96, v96, v119
	v_mul_f32_e32 v102, 0x3df6dbef, v54
	v_mul_f32_e32 v104, 0xbf788fa5, v54
	v_add_f32_e32 v43, v46, v43
	v_mul_f32_e32 v46, 0xbeb58ec6, v54
	v_mul_f32_e32 v54, 0x3f62ad3f, v54
	v_add_f32_e32 v48, v97, v48
	v_add_f32_e32 v96, v96, v9
	;; [unrolled: 1-line block ×4, first 2 shown]
	v_mul_f32_e32 v119, 0xbeb58ec6, v60
	v_mul_f32_e32 v96, 0xbf3f9e67, v60
	v_add_f32_e32 v48, v54, v48
	v_mul_f32_e32 v54, 0x3f62ad3f, v60
	v_mul_f32_e32 v60, 0x3df6dbef, v60
	v_add_f32_e32 v60, v99, v60
	v_add_f32_e32 v48, v60, v48
	v_mul_f32_e32 v60, 0xbf788fa5, v64
	v_sub_f32_e32 v90, v125, v90
	v_mul_f32_e32 v106, 0x3df6dbef, v49
	v_mul_f32_e32 v103, 0xbf788fa5, v49
	;; [unrolled: 1-line block ×4, first 2 shown]
	v_add_f32_e32 v60, v100, v60
	v_sub_f32_e32 v91, v107, v91
	v_add_f32_e32 v90, v90, v8
	v_add_f32_e32 v44, v108, v44
	v_mul_f32_e32 v108, 0xbeb58ec6, v59
	v_mul_f32_e32 v97, 0xbf3f9e67, v59
	;; [unrolled: 1-line block ×4, first 2 shown]
	v_add_f32_e32 v48, v60, v48
	v_mul_f32_e32 v60, 0x3f116cb1, v76
	v_add_f32_e32 v90, v91, v90
	v_sub_f32_e32 v49, v49, v92
	v_mul_f32_e32 v99, 0xbf3f9e67, v62
	v_add_f32_e32 v60, v101, v60
	v_mul_f32_e32 v101, 0x3df6dbef, v62
	v_mul_f32_e32 v107, 0x3f116cb1, v62
	;; [unrolled: 1-line block ×3, first 2 shown]
	v_add_f32_e32 v49, v49, v90
	v_sub_f32_e32 v59, v59, v93
	v_mul_f32_e32 v91, 0xbf788fa5, v73
	v_mul_f32_e32 v90, 0x3f62ad3f, v73
	v_add_f32_e32 v59, v59, v49
	v_mul_f32_e32 v125, 0xbf3f9e67, v73
	v_mul_f32_e32 v73, 0x3f116cb1, v73
	v_add_f32_e32 v49, v60, v48
	v_sub_f32_e32 v48, v62, v94
	v_add_f32_e32 v48, v48, v59
	v_sub_f32_e32 v59, v73, v95
	v_add_f32_e32 v48, v59, v48
	v_add_f32_e32 v59, v84, v118
	;; [unrolled: 1-line block ×6, first 2 shown]
	v_mul_f32_e32 v100, 0xbf3f9e67, v64
	v_mul_f32_e32 v121, 0x3df6dbef, v64
	;; [unrolled: 1-line block ×3, first 2 shown]
	v_add_f32_e32 v46, v46, v59
	v_add_f32_e32 v54, v87, v54
	v_mul_f32_e32 v92, 0xbf788fa5, v76
	v_mul_f32_e32 v93, 0x3f62ad3f, v76
	;; [unrolled: 1-line block ×3, first 2 shown]
	v_add_f32_e32 v46, v54, v46
	v_add_f32_e32 v54, v88, v64
	;; [unrolled: 1-line block ×5, first 2 shown]
	v_sub_f32_e32 v46, v117, v78
	v_add_f32_e32 v46, v46, v8
	v_sub_f32_e32 v54, v110, v79
	v_add_f32_e32 v46, v54, v46
	v_sub_f32_e32 v54, v105, v80
	v_add_f32_e32 v46, v54, v46
	v_sub_f32_e32 v54, v98, v81
	v_add_f32_e32 v46, v54, v46
	v_sub_f32_e32 v54, v107, v82
	v_add_f32_e32 v46, v54, v46
	v_sub_f32_e32 v54, v125, v83
	v_add_f32_e32 v59, v54, v46
	v_add_f32_e32 v46, v68, v116
	v_add_f32_e32 v46, v46, v9
	;; [unrolled: 1-line block ×12, first 2 shown]
	v_sub_f32_e32 v46, v124, v63
	v_add_f32_e32 v38, v38, v123
	v_sub_f32_e32 v36, v122, v36
	v_add_f32_e32 v46, v46, v8
	v_add_f32_e32 v38, v38, v9
	;; [unrolled: 1-line block ×16, first 2 shown]
	v_sub_f32_e32 v37, v120, v37
	v_add_f32_e32 v9, v15, v9
	v_add_f32_e32 v8, v14, v8
	v_sub_f32_e32 v54, v112, v65
	v_add_f32_e32 v38, v39, v38
	v_add_f32_e32 v39, v41, v102
	v_add_f32_e32 v36, v37, v36
	v_sub_f32_e32 v37, v106, v40
	v_add_f32_e32 v9, v21, v9
	;; [unrolled: 4-line block ×9, first 2 shown]
	v_add_f32_e32 v37, v37, v36
	v_add_f32_e32 v9, v33, v9
	;; [unrolled: 1-line block ×3, first 2 shown]
	v_lshlrev_b32_e32 v10, 3, v57
	v_add_f32_e32 v63, v54, v46
	ds_write2_b64 v10, v[8:9], v[37:38] offset1:1
	ds_write2_b64 v10, v[63:64], v[59:60] offset0:2 offset1:3
	ds_write2_b64 v10, v[48:49], v[43:44] offset0:4 offset1:5
	;; [unrolled: 1-line block ×5, first 2 shown]
	ds_write_b64 v10, v[51:52] offset:96
.LBB0_7:
	s_or_b64 exec, exec, s[4:5]
	s_load_dwordx4 s[4:7], s[2:3], 0x0
	s_movk_i32 s2, 0x4f
	v_mul_lo_u16_sdwa v8, v56, s2 dst_sel:DWORD dst_unused:UNUSED_PAD src0_sel:BYTE_0 src1_sel:DWORD
	v_lshrrev_b16_e32 v48, 10, v8
	v_mul_lo_u16_e32 v8, 13, v48
	v_sub_u16_e32 v8, v56, v8
	v_and_b32_e32 v49, 0xff, v8
	v_mul_u32_u24_e32 v8, 6, v49
	v_lshlrev_b32_e32 v20, 3, v8
	s_waitcnt lgkmcnt(0)
	s_barrier
	global_load_dwordx4 v[16:19], v20, s[8:9]
	global_load_dwordx4 v[12:15], v20, s[8:9] offset:16
	global_load_dwordx4 v[8:11], v20, s[8:9] offset:32
	v_add_u32_e32 v20, 0x400, v55
	v_add_u32_e32 v29, 0xc00, v55
	ds_read2_b64 v[21:24], v55 offset1:104
	ds_read_b64 v[36:37], v55 offset:4992
	ds_read2_b64 v[25:28], v20 offset0:80 offset1:184
	ds_read2_b64 v[29:32], v29 offset0:32 offset1:136
	s_mov_b32 s3, 0x3f3bfb3b
	s_mov_b32 s2, 0x3f5ff5aa
	;; [unrolled: 1-line block ×3, first 2 shown]
	s_waitcnt vmcnt(0) lgkmcnt(0)
	s_barrier
	v_mul_f32_e32 v33, v24, v17
	v_mul_f32_e32 v38, v23, v17
	;; [unrolled: 1-line block ×11, first 2 shown]
	v_fma_f32 v23, v23, v16, -v33
	v_fmac_f32_e32 v38, v24, v16
	v_fma_f32 v24, v25, v18, -v39
	v_fma_f32 v25, v27, v12, -v41
	v_fmac_f32_e32 v42, v28, v12
	v_fma_f32 v27, v31, v8, -v45
	v_fma_f32 v28, v36, v10, -v47
	v_mul_f32_e32 v44, v29, v15
	v_fmac_f32_e32 v40, v26, v18
	v_fma_f32 v26, v29, v14, -v43
	v_fmac_f32_e32 v46, v32, v8
	v_fmac_f32_e32 v53, v37, v10
	v_add_f32_e32 v29, v23, v28
	v_add_f32_e32 v31, v24, v27
	v_fmac_f32_e32 v44, v30, v14
	v_add_f32_e32 v30, v38, v53
	v_add_f32_e32 v32, v40, v46
	v_sub_f32_e32 v24, v24, v27
	v_add_f32_e32 v33, v25, v26
	v_sub_f32_e32 v25, v26, v25
	;; [unrolled: 2-line block ×3, first 2 shown]
	v_sub_f32_e32 v28, v38, v53
	v_sub_f32_e32 v27, v40, v46
	v_add_f32_e32 v36, v42, v44
	v_sub_f32_e32 v26, v44, v42
	v_add_f32_e32 v38, v32, v30
	v_sub_f32_e32 v39, v31, v29
	v_sub_f32_e32 v29, v29, v33
	;; [unrolled: 1-line block ×3, first 2 shown]
	v_add_f32_e32 v41, v25, v24
	v_add_f32_e32 v33, v33, v37
	v_sub_f32_e32 v40, v32, v30
	v_sub_f32_e32 v30, v30, v36
	;; [unrolled: 1-line block ×3, first 2 shown]
	v_add_f32_e32 v42, v26, v27
	v_sub_f32_e32 v43, v25, v24
	v_sub_f32_e32 v44, v26, v27
	;; [unrolled: 1-line block ×4, first 2 shown]
	v_add_f32_e32 v38, v36, v38
	v_add_f32_e32 v23, v41, v23
	v_mul_f32_e32 v41, 0x3d64c772, v31
	v_add_f32_e32 v36, v21, v33
	v_sub_f32_e32 v26, v28, v26
	v_sub_f32_e32 v27, v27, v28
	v_add_f32_e32 v28, v42, v28
	v_mul_f32_e32 v42, 0x3d64c772, v32
	v_mul_f32_e32 v53, 0xbf08b237, v43
	;; [unrolled: 1-line block ×3, first 2 shown]
	v_add_f32_e32 v37, v22, v38
	v_fma_f32 v21, v39, s3, -v41
	v_mov_b32_e32 v41, v36
	v_mul_f32_e32 v29, 0x3f4a47b2, v29
	v_mul_f32_e32 v30, 0x3f4a47b2, v30
	;; [unrolled: 1-line block ×4, first 2 shown]
	v_fma_f32 v22, v40, s3, -v42
	v_mov_b32_e32 v42, v37
	v_fmac_f32_e32 v41, 0xbf955555, v33
	v_fma_f32 v24, v24, s2, -v53
	v_fma_f32 v27, v27, s2, -v54
	s_mov_b32 s2, 0xbeae86e6
	v_fmac_f32_e32 v42, 0xbf955555, v38
	v_fma_f32 v33, v39, s10, -v29
	v_fmac_f32_e32 v29, 0x3d64c772, v31
	v_fma_f32 v31, v40, s10, -v30
	v_fmac_f32_e32 v30, 0x3d64c772, v32
	v_fmac_f32_e32 v53, 0x3eae86e6, v25
	;; [unrolled: 1-line block ×3, first 2 shown]
	v_fma_f32 v25, v25, s2, -v43
	v_fma_f32 v26, v26, s2, -v44
	v_add_f32_e32 v21, v21, v41
	v_fmac_f32_e32 v27, 0x3ee1c552, v28
	v_add_f32_e32 v29, v29, v41
	v_add_f32_e32 v30, v30, v42
	;; [unrolled: 1-line block ×5, first 2 shown]
	v_fmac_f32_e32 v53, 0x3ee1c552, v23
	v_fmac_f32_e32 v54, 0x3ee1c552, v28
	v_fmac_f32_e32 v24, 0x3ee1c552, v23
	v_fmac_f32_e32 v25, 0x3ee1c552, v23
	v_fmac_f32_e32 v26, 0x3ee1c552, v28
	v_sub_f32_e32 v42, v21, v27
	v_add_f32_e32 v44, v27, v21
	s_movk_i32 s2, 0x5b
	v_mul_u32_u24_e32 v21, 0x5b, v48
	v_add_f32_e32 v38, v54, v29
	v_sub_f32_e32 v39, v30, v53
	v_add_f32_e32 v40, v26, v32
	v_sub_f32_e32 v41, v31, v25
	;; [unrolled: 2-line block ×3, first 2 shown]
	v_sub_f32_e32 v46, v32, v26
	v_add_f32_e32 v47, v25, v31
	v_sub_f32_e32 v32, v29, v54
	v_add_f32_e32 v33, v53, v30
	v_add_lshl_u32 v58, v21, v49, 3
	v_cmp_gt_u16_e64 s[2:3], s2, v56
	ds_write2_b64 v58, v[36:37], v[38:39] offset1:13
	ds_write2_b64 v58, v[40:41], v[42:43] offset0:26 offset1:39
	ds_write2_b64 v58, v[44:45], v[46:47] offset0:52 offset1:65
	ds_write_b64 v58, v[32:33] offset:624
	s_waitcnt lgkmcnt(0)
	s_barrier
	s_and_saveexec_b64 s[10:11], s[2:3]
	s_cbranch_execz .LBB0_9
; %bb.8:
	ds_read2_b64 v[36:39], v55 offset1:91
	ds_read2_b64 v[40:43], v20 offset0:54 offset1:145
	v_add_u32_e32 v20, 0x800, v55
	ds_read2_b64 v[44:47], v20 offset0:108 offset1:199
	v_add_u32_e32 v20, 0x1000, v55
	ds_read2_b64 v[32:35], v20 offset0:34 offset1:125
.LBB0_9:
	s_or_b64 exec, exec, s[10:11]
	v_add_u32_e32 v20, 0xffffffa5, v56
	v_cndmask_b32_e64 v20, v20, v56, s[2:3]
	v_mul_hi_i32_i24_e32 v21, 56, v20
	v_mul_i32_i24_e32 v20, 56, v20
	v_mov_b32_e32 v22, s9
	v_add_co_u32_e32 v48, vcc, s8, v20
	v_addc_co_u32_e32 v49, vcc, v22, v21, vcc
	global_load_dwordx4 v[28:31], v[48:49], off offset:624
	global_load_dwordx4 v[20:23], v[48:49], off offset:640
	;; [unrolled: 1-line block ×3, first 2 shown]
	global_load_dwordx2 v[53:54], v[48:49], off offset:672
	s_waitcnt vmcnt(3) lgkmcnt(3)
	v_mul_f32_e32 v49, v38, v29
	s_waitcnt lgkmcnt(2)
	v_mul_f32_e32 v59, v41, v31
	v_mul_f32_e32 v60, v40, v31
	s_waitcnt vmcnt(2) lgkmcnt(1)
	v_mul_f32_e32 v63, v45, v23
	v_mul_f32_e32 v64, v44, v23
	s_waitcnt vmcnt(1)
	v_mul_f32_e32 v66, v46, v25
	s_waitcnt lgkmcnt(0)
	v_mul_f32_e32 v67, v33, v27
	v_mul_f32_e32 v68, v32, v27
	;; [unrolled: 1-line block ×6, first 2 shown]
	s_waitcnt vmcnt(0)
	v_mul_f32_e32 v69, v35, v54
	v_mul_f32_e32 v70, v34, v54
	v_fmac_f32_e32 v49, v39, v28
	v_fma_f32 v39, v40, v30, -v59
	v_fmac_f32_e32 v60, v41, v30
	v_fma_f32 v41, v44, v22, -v63
	v_fmac_f32_e32 v64, v45, v22
	v_fmac_f32_e32 v66, v47, v24
	v_fma_f32 v32, v32, v26, -v67
	v_fmac_f32_e32 v68, v33, v26
	v_fma_f32 v38, v38, v28, -v48
	v_fma_f32 v40, v42, v20, -v61
	v_fmac_f32_e32 v62, v43, v20
	v_fma_f32 v42, v46, v24, -v65
	v_fma_f32 v33, v34, v53, -v69
	v_fmac_f32_e32 v70, v35, v53
	v_sub_f32_e32 v34, v36, v41
	v_sub_f32_e32 v35, v37, v64
	;; [unrolled: 1-line block ×8, first 2 shown]
	v_fma_f32 v47, v49, 2.0, -v43
	v_sub_f32_e32 v48, v34, v41
	v_add_f32_e32 v49, v35, v32
	v_fma_f32 v36, v36, 2.0, -v34
	v_fma_f32 v37, v37, 2.0, -v35
	;; [unrolled: 1-line block ×7, first 2 shown]
	v_sub_f32_e32 v59, v42, v44
	v_add_f32_e32 v60, v43, v33
	v_fma_f32 v34, v34, 2.0, -v48
	v_fma_f32 v35, v35, 2.0, -v49
	v_sub_f32_e32 v32, v36, v39
	v_sub_f32_e32 v33, v37, v45
	;; [unrolled: 1-line block ×4, first 2 shown]
	v_fma_f32 v61, v42, 2.0, -v59
	v_fma_f32 v62, v43, 2.0, -v60
	v_mov_b32_e32 v38, v48
	v_mov_b32_e32 v39, v49
	;; [unrolled: 1-line block ×4, first 2 shown]
	v_fma_f32 v63, v36, 2.0, -v32
	v_fma_f32 v64, v37, 2.0, -v33
	;; [unrolled: 1-line block ×4, first 2 shown]
	v_fmac_f32_e32 v38, 0x3f3504f3, v59
	v_fmac_f32_e32 v39, 0x3f3504f3, v60
	;; [unrolled: 1-line block ×4, first 2 shown]
	v_sub_f32_e32 v36, v32, v40
	v_add_f32_e32 v37, v33, v41
	v_sub_f32_e32 v40, v63, v44
	v_sub_f32_e32 v41, v64, v45
	v_fmac_f32_e32 v42, 0xbf3504f3, v62
	v_fmac_f32_e32 v43, 0x3f3504f3, v61
	;; [unrolled: 1-line block ×4, first 2 shown]
	v_fma_f32 v44, v32, 2.0, -v36
	v_fma_f32 v45, v33, 2.0, -v37
	;; [unrolled: 1-line block ×8, first 2 shown]
	s_and_saveexec_b64 s[8:9], s[2:3]
	s_cbranch_execz .LBB0_11
; %bb.10:
	v_add_u32_e32 v48, 0x400, v55
	ds_write2_b64 v48, v[44:45], v[46:47] offset0:54 offset1:145
	v_add_u32_e32 v48, 0x800, v55
	ds_write2_b64 v48, v[40:41], v[42:43] offset0:108 offset1:199
	v_add_u32_e32 v48, 0x1000, v55
	ds_write2_b64 v55, v[32:33], v[34:35] offset1:91
	ds_write2_b64 v48, v[36:37], v[38:39] offset0:34 offset1:125
.LBB0_11:
	s_or_b64 exec, exec, s[8:9]
	s_waitcnt lgkmcnt(0)
	s_barrier
	s_and_saveexec_b64 s[8:9], s[0:1]
	s_cbranch_execz .LBB0_13
; %bb.12:
	v_mov_b32_e32 v48, s13
	v_add_co_u32_e32 v63, vcc, s12, v55
	v_addc_co_u32_e32 v64, vcc, 0, v48, vcc
	v_add_co_u32_e32 v48, vcc, 0x16c0, v63
	v_addc_co_u32_e32 v49, vcc, 0, v64, vcc
	v_add_co_u32_e32 v59, vcc, 0x1000, v63
	v_addc_co_u32_e32 v60, vcc, 0, v64, vcc
	global_load_dwordx2 v[61:62], v[59:60], off offset:1728
	global_load_dwordx2 v[83:84], v[48:49], off offset:448
	;; [unrolled: 1-line block ×3, first 2 shown]
	s_movk_i32 s10, 0x2000
	global_load_dwordx2 v[87:88], v[48:49], off offset:1344
	global_load_dwordx2 v[89:90], v[48:49], off offset:1792
	;; [unrolled: 1-line block ×4, first 2 shown]
	v_add_co_u32_e32 v59, vcc, s10, v63
	v_addc_co_u32_e32 v60, vcc, 0, v64, vcc
	global_load_dwordx2 v[95:96], v[48:49], off offset:3136
	global_load_dwordx2 v[97:98], v[48:49], off offset:3584
	;; [unrolled: 1-line block ×6, first 2 shown]
	ds_read_b64 v[48:49], v55
	v_add_u32_e32 v107, 0x800, v55
	v_add_u32_e32 v108, 0xc00, v55
	;; [unrolled: 1-line block ×3, first 2 shown]
	s_waitcnt vmcnt(12) lgkmcnt(0)
	v_mul_f32_e32 v59, v49, v62
	v_mul_f32_e32 v60, v48, v62
	v_fma_f32 v59, v48, v61, -v59
	v_fmac_f32_e32 v60, v49, v61
	ds_write_b64 v55, v[59:60]
	ds_read2_b64 v[59:62], v55 offset0:56 offset1:112
	ds_read2_b64 v[63:66], v55 offset0:168 offset1:224
	;; [unrolled: 1-line block ×6, first 2 shown]
	s_waitcnt vmcnt(11) lgkmcnt(5)
	v_mul_f32_e32 v48, v60, v84
	v_mul_f32_e32 v49, v59, v84
	s_waitcnt vmcnt(10)
	v_mul_f32_e32 v110, v62, v86
	v_mul_f32_e32 v84, v61, v86
	s_waitcnt vmcnt(9) lgkmcnt(4)
	v_mul_f32_e32 v111, v64, v88
	v_mul_f32_e32 v86, v63, v88
	s_waitcnt vmcnt(8)
	v_mul_f32_e32 v112, v66, v90
	v_mul_f32_e32 v88, v65, v90
	;; [unrolled: 6-line block ×4, first 2 shown]
	s_waitcnt vmcnt(1) lgkmcnt(1)
	v_mul_f32_e32 v117, v76, v104
	v_mul_f32_e32 v98, v75, v104
	;; [unrolled: 1-line block ×4, first 2 shown]
	v_fma_f32 v48, v59, v83, -v48
	v_fmac_f32_e32 v49, v60, v83
	v_fma_f32 v83, v61, v85, -v110
	v_fmac_f32_e32 v84, v62, v85
	s_waitcnt lgkmcnt(0)
	v_mul_f32_e32 v100, v80, v102
	v_fma_f32 v85, v63, v87, -v111
	v_fmac_f32_e32 v86, v64, v87
	v_fma_f32 v87, v65, v89, -v112
	v_fmac_f32_e32 v88, v66, v89
	;; [unrolled: 2-line block ×8, first 2 shown]
	ds_write2_b64 v55, v[48:49], v[83:84] offset0:56 offset1:112
	ds_write2_b64 v55, v[85:86], v[87:88] offset0:168 offset1:224
	;; [unrolled: 1-line block ×5, first 2 shown]
	v_mul_f32_e32 v60, v79, v102
	s_waitcnt vmcnt(0)
	v_mul_f32_e32 v48, v82, v106
	v_mul_f32_e32 v49, v81, v106
	v_fma_f32 v59, v79, v101, -v100
	v_fmac_f32_e32 v60, v80, v101
	v_fma_f32 v48, v81, v105, -v48
	v_fmac_f32_e32 v49, v82, v105
	ds_write2_b64 v109, v[59:60], v[48:49] offset0:104 offset1:160
.LBB0_13:
	s_or_b64 exec, exec, s[8:9]
	s_waitcnt lgkmcnt(0)
	s_barrier
	s_and_saveexec_b64 s[8:9], s[0:1]
	s_cbranch_execz .LBB0_15
; %bb.14:
	v_add_u32_e32 v0, 0x400, v55
	ds_read2_b64 v[32:35], v55 offset1:56
	ds_read2_b64 v[44:47], v55 offset0:112 offset1:168
	ds_read2_b64 v[40:43], v0 offset0:96 offset1:152
	v_add_u32_e32 v0, 0x800, v55
	ds_read2_b64 v[36:39], v0 offset0:80 offset1:136
	ds_read2_b64 v[4:7], v0 offset0:192 offset1:248
	v_add_u32_e32 v0, 0x1000, v55
	ds_read2_b64 v[0:3], v0 offset0:48 offset1:104
	ds_read_b64 v[51:52], v55 offset:5376
.LBB0_15:
	s_or_b64 exec, exec, s[8:9]
	s_waitcnt lgkmcnt(0)
	v_sub_f32_e32 v71, v35, v52
	v_add_f32_e32 v59, v51, v34
	v_add_f32_e32 v74, v52, v35
	s_mov_b32 s10, 0xbf788fa5
	v_mul_f32_e32 v83, 0xbe750f2a, v71
	v_sub_f32_e32 v72, v45, v3
	v_mul_f32_e32 v85, 0xbf788fa5, v74
	v_fma_f32 v48, v59, s10, -v83
	v_add_f32_e32 v60, v2, v44
	v_add_f32_e32 v76, v3, v45
	s_mov_b32 s11, 0x3f62ad3f
	v_mul_f32_e32 v84, 0x3eedf032, v72
	v_sub_f32_e32 v61, v34, v51
	v_add_f32_e32 v48, v32, v48
	v_mov_b32_e32 v49, v85
	v_mul_f32_e32 v87, 0x3f62ad3f, v76
	v_fma_f32 v62, v60, s11, -v84
	v_fmac_f32_e32 v49, 0xbe750f2a, v61
	v_sub_f32_e32 v63, v44, v2
	v_add_f32_e32 v48, v62, v48
	v_mov_b32_e32 v62, v87
	v_add_f32_e32 v49, v33, v49
	v_fmac_f32_e32 v62, 0x3eedf032, v63
	v_sub_f32_e32 v73, v47, v1
	v_add_f32_e32 v49, v62, v49
	v_add_f32_e32 v62, v0, v46
	v_add_f32_e32 v78, v1, v47
	s_mov_b32 s16, 0xbf3f9e67
	v_mul_f32_e32 v86, 0xbf29c268, v73
	v_mul_f32_e32 v89, 0xbf3f9e67, v78
	v_fma_f32 v64, v62, s16, -v86
	v_sub_f32_e32 v65, v46, v0
	v_add_f32_e32 v48, v64, v48
	v_mov_b32_e32 v64, v89
	v_fmac_f32_e32 v64, 0xbf29c268, v65
	v_sub_f32_e32 v75, v41, v7
	v_add_f32_e32 v49, v64, v49
	v_add_f32_e32 v64, v6, v40
	v_add_f32_e32 v80, v7, v41
	s_mov_b32 s17, 0x3f116cb1
	v_mul_f32_e32 v88, 0x3f52af12, v75
	v_mul_f32_e32 v91, 0x3f116cb1, v80
	v_fma_f32 v66, v64, s17, -v88
	v_sub_f32_e32 v67, v40, v6
	v_add_f32_e32 v48, v66, v48
	v_mov_b32_e32 v66, v91
	;; [unrolled: 12-line block ×4, first 2 shown]
	v_fmac_f32_e32 v95, 0x3f7e222b, v70
	v_add_f32_e32 v49, v95, v49
	s_barrier
	s_and_saveexec_b64 s[8:9], s[0:1]
	s_cbranch_execz .LBB0_17
; %bb.16:
	v_mul_f32_e32 v95, 0xbf788fa5, v59
	v_mul_f32_e32 v97, 0x3f62ad3f, v60
	v_add_f32_e32 v83, v95, v83
	v_mul_f32_e32 v96, 0xbe750f2a, v61
	v_mul_f32_e32 v99, 0xbf3f9e67, v62
	v_add_f32_e32 v83, v32, v83
	v_add_f32_e32 v84, v97, v84
	v_mul_f32_e32 v98, 0x3eedf032, v63
	v_mul_f32_e32 v101, 0x3f116cb1, v64
	v_sub_f32_e32 v85, v85, v96
	v_add_f32_e32 v83, v84, v83
	v_add_f32_e32 v84, v99, v86
	v_mul_f32_e32 v100, 0xbf29c268, v65
	v_mul_f32_e32 v103, 0xbeb58ec6, v66
	v_add_f32_e32 v85, v33, v85
	v_sub_f32_e32 v87, v87, v98
	v_add_f32_e32 v83, v84, v83
	v_add_f32_e32 v84, v101, v88
	v_mul_f32_e32 v102, 0x3f52af12, v67
	v_mul_f32_e32 v105, 0x3df6dbef, v68
	v_add_f32_e32 v85, v87, v85
	v_sub_f32_e32 v87, v89, v100
	v_add_f32_e32 v83, v84, v83
	v_add_f32_e32 v84, v103, v90
	v_mul_f32_e32 v104, 0xbf6f5d39, v69
	v_add_f32_e32 v85, v87, v85
	v_sub_f32_e32 v87, v91, v102
	v_add_f32_e32 v83, v84, v83
	v_add_f32_e32 v84, v105, v92
	v_mul_f32_e32 v106, 0x3f7e222b, v70
	v_add_f32_e32 v85, v87, v85
	v_sub_f32_e32 v87, v93, v104
	v_add_f32_e32 v84, v84, v83
	v_mul_f32_e32 v83, 0xbf3f9e67, v74
	v_add_f32_e32 v85, v87, v85
	v_sub_f32_e32 v87, v94, v106
	v_mov_b32_e32 v86, v83
	v_mul_f32_e32 v94, 0x3df6dbef, v76
	v_add_f32_e32 v85, v87, v85
	v_fmac_f32_e32 v86, 0x3f29c268, v61
	v_mov_b32_e32 v87, v94
	v_add_f32_e32 v86, v33, v86
	v_fmac_f32_e32 v87, 0xbf7e222b, v63
	v_mul_f32_e32 v95, 0x3f116cb1, v78
	v_add_f32_e32 v86, v87, v86
	v_mov_b32_e32 v87, v95
	v_fmac_f32_e32 v87, 0x3f52af12, v65
	v_mul_f32_e32 v96, 0xbf788fa5, v80
	v_add_f32_e32 v86, v87, v86
	v_mov_b32_e32 v87, v96
	v_fmac_f32_e32 v87, 0xbe750f2a, v67
	v_mul_f32_e32 v97, 0x3f62ad3f, v81
	v_add_f32_e32 v86, v87, v86
	v_mov_b32_e32 v87, v97
	v_fmac_f32_e32 v87, 0xbeedf032, v69
	v_mul_f32_e32 v98, 0xbeb58ec6, v82
	v_add_f32_e32 v86, v87, v86
	v_mov_b32_e32 v87, v98
	v_fmac_f32_e32 v87, 0x3f6f5d39, v70
	v_mul_f32_e32 v99, 0xbf29c268, v71
	v_add_f32_e32 v87, v87, v86
	v_mov_b32_e32 v86, v99
	v_mul_f32_e32 v100, 0x3f7e222b, v72
	v_fmac_f32_e32 v86, 0xbf3f9e67, v59
	v_mov_b32_e32 v88, v100
	v_add_f32_e32 v86, v32, v86
	v_fmac_f32_e32 v88, 0x3df6dbef, v60
	v_mul_f32_e32 v101, 0xbf52af12, v73
	v_add_f32_e32 v86, v88, v86
	v_mov_b32_e32 v88, v101
	v_fmac_f32_e32 v88, 0x3f116cb1, v62
	v_mul_f32_e32 v102, 0x3e750f2a, v75
	v_add_f32_e32 v86, v88, v86
	v_mov_b32_e32 v88, v102
	v_fmac_f32_e32 v88, 0xbf788fa5, v64
	v_mul_f32_e32 v103, 0x3eedf032, v77
	v_add_f32_e32 v86, v88, v86
	v_mov_b32_e32 v88, v103
	v_fmac_f32_e32 v88, 0x3f62ad3f, v66
	v_mul_f32_e32 v104, 0xbf6f5d39, v79
	v_add_f32_e32 v86, v88, v86
	v_mov_b32_e32 v88, v104
	v_fmac_f32_e32 v88, 0xbeb58ec6, v68
	v_mul_f32_e32 v105, 0xbeb58ec6, v74
	v_add_f32_e32 v86, v88, v86
	v_mov_b32_e32 v88, v105
	v_mul_f32_e32 v106, 0xbf3f9e67, v76
	;; [unrolled: 24-line block ×4, first 2 shown]
	v_fmac_f32_e32 v90, 0x3f7e222b, v61
	v_mov_b32_e32 v91, v118
	v_add_f32_e32 v90, v33, v90
	v_fmac_f32_e32 v91, 0x3e750f2a, v63
	v_mul_f32_e32 v119, 0xbeb58ec6, v78
	v_add_f32_e32 v35, v35, v33
	v_add_f32_e32 v90, v91, v90
	v_mov_b32_e32 v91, v119
	v_add_f32_e32 v35, v45, v35
	v_fmac_f32_e32 v91, 0xbf6f5d39, v65
	v_mul_f32_e32 v120, 0x3f62ad3f, v80
	v_add_f32_e32 v35, v47, v35
	v_add_f32_e32 v90, v91, v90
	v_mov_b32_e32 v91, v120
	v_add_f32_e32 v35, v41, v35
	v_fmac_f32_e32 v91, 0xbeedf032, v67
	v_mul_f32_e32 v121, 0x3f116cb1, v81
	v_add_f32_e32 v35, v43, v35
	v_add_f32_e32 v90, v91, v90
	v_mov_b32_e32 v91, v121
	v_add_f32_e32 v35, v37, v35
	v_fmac_f32_e32 v91, 0x3f52af12, v69
	v_mul_f32_e32 v122, 0xbf3f9e67, v82
	v_add_f32_e32 v35, v39, v35
	v_add_f32_e32 v90, v91, v90
	v_mov_b32_e32 v91, v122
	v_add_f32_e32 v5, v5, v35
	v_fmac_f32_e32 v91, 0x3f29c268, v70
	v_mul_f32_e32 v123, 0xbf7e222b, v71
	v_add_f32_e32 v5, v7, v5
	v_add_f32_e32 v91, v91, v90
	v_mov_b32_e32 v90, v123
	v_mul_f32_e32 v124, 0xbe750f2a, v72
	v_add_f32_e32 v1, v1, v5
	v_fmac_f32_e32 v90, 0x3df6dbef, v59
	v_mov_b32_e32 v92, v124
	v_add_f32_e32 v1, v3, v1
	v_add_f32_e32 v3, v34, v32
	v_add_f32_e32 v90, v32, v90
	v_fmac_f32_e32 v92, 0xbf788fa5, v60
	v_mul_f32_e32 v125, 0x3f6f5d39, v73
	v_add_f32_e32 v3, v44, v3
	v_add_f32_e32 v90, v92, v90
	v_mov_b32_e32 v92, v125
	v_add_f32_e32 v3, v46, v3
	v_fmac_f32_e32 v92, 0xbeb58ec6, v62
	v_mul_f32_e32 v126, 0x3eedf032, v75
	v_add_f32_e32 v3, v40, v3
	v_add_f32_e32 v90, v92, v90
	v_mov_b32_e32 v92, v126
	v_add_f32_e32 v3, v42, v3
	;; [unrolled: 6-line block ×4, first 2 shown]
	v_fmac_f32_e32 v92, 0xbf3f9e67, v68
	v_mul_f32_e32 v129, 0x3f116cb1, v74
	v_add_f32_e32 v0, v0, v3
	v_fmac_f32_e32 v83, 0xbf29c268, v61
	v_add_f32_e32 v90, v92, v90
	v_mov_b32_e32 v92, v129
	v_mul_f32_e32 v130, 0xbeb58ec6, v76
	v_add_f32_e32 v0, v2, v0
	v_add_f32_e32 v2, v33, v83
	v_fmac_f32_e32 v94, 0x3f7e222b, v63
	v_fmac_f32_e32 v92, 0x3f52af12, v61
	v_mov_b32_e32 v93, v130
	v_add_f32_e32 v2, v94, v2
	v_fmac_f32_e32 v95, 0xbf52af12, v65
	v_add_f32_e32 v92, v33, v92
	v_fmac_f32_e32 v93, 0x3f6f5d39, v63
	v_mul_f32_e32 v131, 0xbf788fa5, v78
	v_add_f32_e32 v2, v95, v2
	v_fmac_f32_e32 v96, 0x3e750f2a, v67
	v_add_f32_e32 v92, v93, v92
	v_mov_b32_e32 v93, v131
	v_add_f32_e32 v2, v96, v2
	v_fmac_f32_e32 v97, 0x3eedf032, v69
	v_fmac_f32_e32 v93, 0x3e750f2a, v65
	v_mul_f32_e32 v132, 0xbf3f9e67, v80
	v_add_f32_e32 v2, v97, v2
	v_fmac_f32_e32 v98, 0xbf6f5d39, v70
	v_add_f32_e32 v92, v93, v92
	v_mov_b32_e32 v93, v132
	v_add_f32_e32 v3, v98, v2
	v_fma_f32 v2, v59, s16, -v99
	v_fmac_f32_e32 v93, 0xbf29c268, v67
	v_mul_f32_e32 v133, 0x3df6dbef, v81
	v_add_f32_e32 v2, v32, v2
	v_fma_f32 v4, v60, s19, -v100
	v_add_f32_e32 v92, v93, v92
	v_mov_b32_e32 v93, v133
	v_add_f32_e32 v2, v4, v2
	v_fma_f32 v4, v62, s17, -v101
	v_fmac_f32_e32 v93, 0xbf7e222b, v69
	v_mul_f32_e32 v134, 0x3f62ad3f, v82
	v_add_f32_e32 v2, v4, v2
	v_fma_f32 v4, v64, s10, -v102
	;; [unrolled: 8-line block ×3, first 2 shown]
	v_fmac_f32_e32 v105, 0xbf6f5d39, v61
	v_add_f32_e32 v93, v93, v92
	v_mov_b32_e32 v92, v135
	v_mul_f32_e32 v136, 0xbf6f5d39, v72
	v_add_f32_e32 v2, v4, v2
	v_add_f32_e32 v4, v33, v105
	v_fmac_f32_e32 v106, 0x3f29c268, v63
	v_fmac_f32_e32 v92, 0x3f116cb1, v59
	v_mov_b32_e32 v137, v136
	v_add_f32_e32 v4, v106, v4
	v_fmac_f32_e32 v107, 0x3eedf032, v65
	v_add_f32_e32 v92, v32, v92
	v_fmac_f32_e32 v137, 0xbeb58ec6, v60
	;; [unrolled: 2-line block ×3, first 2 shown]
	v_add_f32_e32 v92, v137, v92
	v_mul_f32_e32 v137, 0xbe750f2a, v73
	v_add_f32_e32 v4, v108, v4
	v_fmac_f32_e32 v109, 0x3e750f2a, v69
	v_mov_b32_e32 v138, v137
	v_add_f32_e32 v4, v109, v4
	v_fmac_f32_e32 v110, 0x3f52af12, v70
	v_fmac_f32_e32 v138, 0xbf788fa5, v62
	v_add_f32_e32 v5, v110, v4
	v_fma_f32 v4, v59, s18, -v111
	v_add_f32_e32 v92, v138, v92
	v_mul_f32_e32 v138, 0x3f29c268, v75
	v_add_f32_e32 v4, v32, v4
	v_fma_f32 v6, v60, s16, -v112
	v_mov_b32_e32 v139, v138
	v_add_f32_e32 v4, v6, v4
	v_fma_f32 v6, v62, s11, -v113
	v_fmac_f32_e32 v139, 0xbf3f9e67, v64
	v_add_f32_e32 v4, v6, v4
	v_fma_f32 v6, v64, s19, -v114
	v_add_f32_e32 v92, v139, v92
	v_mul_f32_e32 v139, 0x3f7e222b, v77
	v_add_f32_e32 v4, v6, v4
	v_fma_f32 v6, v66, s10, -v115
	v_mov_b32_e32 v140, v139
	v_add_f32_e32 v4, v6, v4
	v_fma_f32 v6, v68, s17, -v116
	v_fmac_f32_e32 v117, 0xbf7e222b, v61
	v_fmac_f32_e32 v140, 0x3df6dbef, v66
	v_add_f32_e32 v4, v6, v4
	v_add_f32_e32 v6, v33, v117
	v_fmac_f32_e32 v118, 0xbe750f2a, v63
	v_add_f32_e32 v92, v140, v92
	v_mul_f32_e32 v140, 0x3eedf032, v79
	v_add_f32_e32 v6, v118, v6
	v_fmac_f32_e32 v119, 0x3f6f5d39, v65
	v_mov_b32_e32 v141, v140
	v_add_f32_e32 v6, v119, v6
	v_fmac_f32_e32 v120, 0x3eedf032, v67
	v_fmac_f32_e32 v141, 0x3f62ad3f, v68
	v_add_f32_e32 v6, v120, v6
	v_fmac_f32_e32 v121, 0xbf52af12, v69
	v_add_f32_e32 v92, v141, v92
	v_mul_f32_e32 v141, 0x3f62ad3f, v74
	v_add_f32_e32 v6, v121, v6
	v_fmac_f32_e32 v122, 0xbf29c268, v70
	v_mov_b32_e32 v74, v141
	v_mul_f32_e32 v76, 0x3f116cb1, v76
	v_add_f32_e32 v7, v122, v6
	v_fma_f32 v6, v59, s19, -v123
	v_fmac_f32_e32 v74, 0x3eedf032, v61
	v_mov_b32_e32 v142, v76
	v_add_f32_e32 v6, v32, v6
	v_fma_f32 v34, v60, s10, -v124
	v_add_f32_e32 v74, v33, v74
	v_fmac_f32_e32 v142, 0x3f52af12, v63
	v_mul_f32_e32 v78, 0x3df6dbef, v78
	v_add_f32_e32 v6, v34, v6
	v_fma_f32 v34, v62, s18, -v125
	v_add_f32_e32 v74, v142, v74
	v_mov_b32_e32 v142, v78
	v_add_f32_e32 v6, v34, v6
	v_fma_f32 v34, v64, s11, -v126
	v_fmac_f32_e32 v142, 0x3f7e222b, v65
	v_mul_f32_e32 v80, 0xbeb58ec6, v80
	v_add_f32_e32 v6, v34, v6
	v_fma_f32 v34, v66, s17, -v127
	v_add_f32_e32 v74, v142, v74
	v_mov_b32_e32 v142, v80
	v_add_f32_e32 v6, v34, v6
	v_fma_f32 v34, v68, s16, -v128
	v_fmac_f32_e32 v129, 0xbf52af12, v61
	v_fmac_f32_e32 v142, 0x3f6f5d39, v67
	v_mul_f32_e32 v81, 0xbf3f9e67, v81
	v_add_f32_e32 v6, v34, v6
	v_add_f32_e32 v34, v33, v129
	v_fmac_f32_e32 v130, 0xbf6f5d39, v63
	v_add_f32_e32 v74, v142, v74
	v_mov_b32_e32 v142, v81
	v_add_f32_e32 v34, v130, v34
	v_fmac_f32_e32 v131, 0xbe750f2a, v65
	v_fmac_f32_e32 v142, 0x3f29c268, v69
	v_mul_f32_e32 v82, 0xbf788fa5, v82
	v_add_f32_e32 v34, v131, v34
	v_fmac_f32_e32 v132, 0x3f29c268, v67
	v_add_f32_e32 v74, v142, v74
	v_mov_b32_e32 v142, v82
	v_add_f32_e32 v34, v132, v34
	v_fmac_f32_e32 v133, 0x3f7e222b, v69
	v_fmac_f32_e32 v142, 0x3e750f2a, v70
	v_mul_f32_e32 v71, 0xbeedf032, v71
	v_add_f32_e32 v34, v133, v34
	v_fmac_f32_e32 v134, 0x3eedf032, v70
	v_add_f32_e32 v74, v142, v74
	v_mov_b32_e32 v142, v71
	v_mul_f32_e32 v72, 0xbf52af12, v72
	v_add_f32_e32 v35, v134, v34
	v_fma_f32 v34, v59, s17, -v135
	v_fmac_f32_e32 v142, 0x3f62ad3f, v59
	v_mov_b32_e32 v143, v72
	v_add_f32_e32 v34, v32, v34
	v_fma_f32 v36, v60, s18, -v136
	v_add_f32_e32 v142, v32, v142
	v_fmac_f32_e32 v143, 0x3f116cb1, v60
	v_add_f32_e32 v34, v36, v34
	v_fma_f32 v36, v62, s10, -v137
	v_add_f32_e32 v142, v143, v142
	v_mul_f32_e32 v143, 0xbf7e222b, v73
	v_add_f32_e32 v34, v36, v34
	v_fma_f32 v36, v64, s16, -v138
	v_mov_b32_e32 v73, v143
	v_add_f32_e32 v34, v36, v34
	v_fma_f32 v36, v66, s19, -v139
	v_fmac_f32_e32 v73, 0x3df6dbef, v62
	v_mul_f32_e32 v75, 0xbf6f5d39, v75
	v_add_f32_e32 v34, v36, v34
	v_fma_f32 v36, v68, s11, -v140
	v_add_f32_e32 v73, v73, v142
	v_mov_b32_e32 v142, v75
	v_add_f32_e32 v34, v36, v34
	v_fma_f32 v36, v59, s11, -v71
	v_fmac_f32_e32 v142, 0xbeb58ec6, v64
	v_mul_f32_e32 v77, 0xbf29c268, v77
	v_fmac_f32_e32 v141, 0xbeedf032, v61
	v_add_f32_e32 v32, v32, v36
	v_fma_f32 v36, v60, s17, -v72
	v_add_f32_e32 v73, v142, v73
	v_mov_b32_e32 v142, v77
	v_add_f32_e32 v33, v33, v141
	v_fmac_f32_e32 v76, 0xbf52af12, v63
	v_add_f32_e32 v32, v36, v32
	v_fma_f32 v36, v62, s19, -v143
	v_fmac_f32_e32 v142, 0xbf3f9e67, v66
	v_mul_f32_e32 v79, 0xbe750f2a, v79
	v_add_f32_e32 v33, v76, v33
	v_fmac_f32_e32 v78, 0xbf7e222b, v65
	v_add_f32_e32 v32, v36, v32
	v_fma_f32 v36, v64, s18, -v75
	v_add_f32_e32 v73, v142, v73
	v_mov_b32_e32 v142, v79
	v_add_f32_e32 v33, v78, v33
	v_fmac_f32_e32 v80, 0xbf6f5d39, v67
	v_add_f32_e32 v32, v36, v32
	v_fma_f32 v36, v66, s16, -v77
	v_fmac_f32_e32 v142, 0xbf788fa5, v68
	v_add_f32_e32 v33, v80, v33
	v_fmac_f32_e32 v81, 0xbf29c268, v69
	v_add_f32_e32 v32, v36, v32
	v_fma_f32 v36, v68, s10, -v79
	v_add_f32_e32 v73, v142, v73
	v_add_f32_e32 v1, v52, v1
	;; [unrolled: 1-line block ×4, first 2 shown]
	v_fmac_f32_e32 v82, 0xbe750f2a, v70
	v_add_f32_e32 v32, v36, v32
	v_lshlrev_b32_e32 v36, 3, v57
	v_add_f32_e32 v33, v82, v33
	ds_write2_b64 v36, v[0:1], v[73:74] offset1:1
	ds_write2_b64 v36, v[92:93], v[90:91] offset0:2 offset1:3
	ds_write2_b64 v36, v[88:89], v[86:87] offset0:4 offset1:5
	;; [unrolled: 1-line block ×5, first 2 shown]
	ds_write_b64 v36, v[32:33] offset:96
.LBB0_17:
	s_or_b64 exec, exec, s[8:9]
	s_waitcnt lgkmcnt(0)
	s_barrier
	ds_read2_b64 v[0:3], v55 offset1:104
	v_add_u32_e32 v32, 0x400, v55
	ds_read2_b64 v[4:7], v32 offset0:80 offset1:184
	v_add_u32_e32 v33, 0xc00, v55
	ds_read2_b64 v[33:36], v33 offset0:32 offset1:136
	ds_read_b64 v[37:38], v55 offset:4992
	s_waitcnt lgkmcnt(3)
	v_mul_f32_e32 v39, v17, v3
	v_fmac_f32_e32 v39, v16, v2
	v_mul_f32_e32 v2, v17, v2
	v_fma_f32 v2, v16, v3, -v2
	s_waitcnt lgkmcnt(2)
	v_mul_f32_e32 v3, v19, v5
	v_fmac_f32_e32 v3, v18, v4
	v_mul_f32_e32 v4, v19, v4
	v_fma_f32 v4, v18, v5, -v4
	v_mul_f32_e32 v5, v13, v7
	v_fmac_f32_e32 v5, v12, v6
	v_mul_f32_e32 v6, v13, v6
	s_waitcnt lgkmcnt(1)
	v_mul_f32_e32 v13, v9, v36
	v_mul_f32_e32 v9, v9, v35
	v_fmac_f32_e32 v13, v8, v35
	v_fma_f32 v8, v8, v36, -v9
	s_waitcnt lgkmcnt(0)
	v_mul_f32_e32 v9, v11, v38
	v_mul_f32_e32 v11, v11, v37
	v_fma_f32 v6, v12, v7, -v6
	v_mul_f32_e32 v7, v15, v34
	v_mul_f32_e32 v12, v15, v33
	v_fmac_f32_e32 v9, v10, v37
	v_fma_f32 v10, v10, v38, -v11
	v_fmac_f32_e32 v7, v14, v33
	v_fma_f32 v12, v14, v34, -v12
	v_add_f32_e32 v11, v39, v9
	v_add_f32_e32 v14, v2, v10
	v_sub_f32_e32 v2, v2, v10
	v_add_f32_e32 v10, v3, v13
	v_add_f32_e32 v15, v4, v8
	v_sub_f32_e32 v4, v4, v8
	v_add_f32_e32 v8, v5, v7
	v_sub_f32_e32 v5, v7, v5
	;; [unrolled: 2-line block ×4, first 2 shown]
	v_add_f32_e32 v12, v15, v14
	v_add_f32_e32 v7, v8, v7
	v_sub_f32_e32 v16, v10, v11
	v_sub_f32_e32 v11, v11, v8
	;; [unrolled: 1-line block ×3, first 2 shown]
	v_add_f32_e32 v8, v13, v12
	v_add_f32_e32 v0, v0, v7
	v_sub_f32_e32 v17, v15, v14
	v_sub_f32_e32 v14, v14, v13
	;; [unrolled: 1-line block ×3, first 2 shown]
	v_add_f32_e32 v1, v1, v8
	v_mov_b32_e32 v35, v0
	v_sub_f32_e32 v9, v39, v9
	v_add_f32_e32 v18, v5, v3
	v_add_f32_e32 v19, v6, v4
	v_sub_f32_e32 v33, v5, v3
	v_sub_f32_e32 v34, v6, v4
	v_mul_f32_e32 v12, 0x3f4a47b2, v14
	v_mul_f32_e32 v13, 0x3d64c772, v10
	;; [unrolled: 1-line block ×3, first 2 shown]
	v_fmac_f32_e32 v35, 0xbf955555, v7
	v_mov_b32_e32 v7, v1
	s_mov_b32 s9, 0x3f3bfb3b
	v_sub_f32_e32 v5, v9, v5
	v_sub_f32_e32 v6, v2, v6
	;; [unrolled: 1-line block ×4, first 2 shown]
	v_add_f32_e32 v9, v18, v9
	v_add_f32_e32 v2, v19, v2
	v_mul_f32_e32 v11, 0x3f4a47b2, v11
	v_mul_f32_e32 v18, 0x3f08b237, v33
	;; [unrolled: 1-line block ×3, first 2 shown]
	s_mov_b32 s8, 0xbf5ff5aa
	v_fmac_f32_e32 v7, 0xbf955555, v8
	v_fma_f32 v8, v16, s9, -v13
	v_fma_f32 v13, v17, s9, -v14
	s_mov_b32 s9, 0xbf3bfb3b
	v_mul_f32_e32 v33, 0xbf5ff5aa, v3
	v_mul_f32_e32 v34, 0xbf5ff5aa, v4
	v_fma_f32 v14, v16, s9, -v11
	v_fmac_f32_e32 v11, 0x3d64c772, v10
	v_fma_f32 v10, v17, s9, -v12
	v_fmac_f32_e32 v12, 0x3d64c772, v15
	v_fma_f32 v15, v3, s8, -v18
	v_fma_f32 v16, v4, s8, -v19
	s_mov_b32 s8, 0x3eae86e6
	v_fmac_f32_e32 v18, 0xbeae86e6, v5
	v_fmac_f32_e32 v19, 0xbeae86e6, v6
	v_fma_f32 v17, v5, s8, -v33
	v_fma_f32 v33, v6, s8, -v34
	v_add_f32_e32 v34, v11, v35
	v_add_f32_e32 v12, v12, v7
	;; [unrolled: 1-line block ×6, first 2 shown]
	v_fmac_f32_e32 v18, 0xbee1c552, v9
	v_fmac_f32_e32 v19, 0xbee1c552, v2
	;; [unrolled: 1-line block ×6, first 2 shown]
	v_add_f32_e32 v2, v19, v34
	v_sub_f32_e32 v3, v12, v18
	v_add_f32_e32 v4, v33, v13
	v_sub_f32_e32 v5, v14, v17
	v_sub_f32_e32 v6, v8, v16
	v_add_f32_e32 v7, v15, v11
	v_add_f32_e32 v8, v16, v8
	v_sub_f32_e32 v9, v11, v15
	v_sub_f32_e32 v10, v13, v33
	v_add_f32_e32 v11, v17, v14
	v_sub_f32_e32 v46, v34, v19
	v_add_f32_e32 v47, v18, v12
	s_barrier
	ds_write2_b64 v58, v[0:1], v[2:3] offset1:13
	ds_write2_b64 v58, v[4:5], v[6:7] offset0:26 offset1:39
	ds_write2_b64 v58, v[8:9], v[10:11] offset0:52 offset1:65
	ds_write_b64 v58, v[46:47] offset:624
	s_waitcnt lgkmcnt(0)
	s_barrier
	s_and_saveexec_b64 s[8:9], s[2:3]
	s_cbranch_execz .LBB0_19
; %bb.18:
	v_add_u32_e32 v8, 0x800, v55
	v_add_u32_e32 v12, 0x1000, v55
	ds_read2_b64 v[0:3], v55 offset1:91
	ds_read2_b64 v[4:7], v32 offset0:54 offset1:145
	ds_read2_b64 v[8:11], v8 offset0:108 offset1:199
	;; [unrolled: 1-line block ×3, first 2 shown]
.LBB0_19:
	s_or_b64 exec, exec, s[8:9]
	s_and_saveexec_b64 s[8:9], s[2:3]
	s_cbranch_execz .LBB0_21
; %bb.20:
	s_waitcnt lgkmcnt(1)
	v_mul_f32_e32 v12, v23, v8
	v_fma_f32 v12, v22, v9, -v12
	v_mul_f32_e32 v19, v21, v7
	v_sub_f32_e32 v13, v1, v12
	v_mul_f32_e32 v14, v31, v5
	s_waitcnt lgkmcnt(0)
	v_mul_f32_e32 v12, v27, v47
	v_fmac_f32_e32 v19, v20, v6
	v_mul_f32_e32 v6, v21, v6
	v_fmac_f32_e32 v14, v30, v4
	v_fmac_f32_e32 v12, v26, v46
	v_fma_f32 v6, v20, v7, -v6
	v_mul_f32_e32 v20, v29, v3
	v_sub_f32_e32 v15, v14, v12
	v_mul_f32_e32 v12, v29, v2
	v_fmac_f32_e32 v20, v28, v2
	v_mul_f32_e32 v2, v25, v11
	v_fmac_f32_e32 v2, v24, v10
	v_fma_f32 v17, v28, v3, -v12
	v_mul_f32_e32 v12, v25, v10
	v_sub_f32_e32 v10, v20, v2
	v_mul_f32_e32 v2, v31, v4
	v_fma_f32 v4, v30, v5, -v2
	v_mul_f32_e32 v2, v27, v46
	v_fma_f32 v2, v26, v47, -v2
	v_fma_f32 v12, v24, v11, -v12
	v_sub_f32_e32 v5, v4, v2
	v_mul_f32_e32 v2, v23, v9
	v_sub_f32_e32 v18, v17, v12
	v_mul_f32_e32 v12, v54, v49
	v_mul_f32_e32 v7, v54, v48
	v_fmac_f32_e32 v2, v22, v8
	v_fmac_f32_e32 v12, v53, v48
	v_fma_f32 v7, v53, v49, -v7
	v_sub_f32_e32 v8, v0, v2
	v_sub_f32_e32 v16, v13, v15
	;; [unrolled: 1-line block ×4, first 2 shown]
	v_fma_f32 v25, v0, 2.0, -v8
	v_fma_f32 v0, v14, 2.0, -v15
	v_sub_f32_e32 v33, v18, v32
	v_sub_f32_e32 v15, v25, v0
	v_fma_f32 v0, v6, 2.0, -v7
	v_fma_f32 v6, v13, 2.0, -v16
	v_add_f32_e32 v21, v7, v10
	v_fma_f32 v23, v1, 2.0, -v13
	v_fma_f32 v13, v18, 2.0, -v33
	v_mov_b32_e32 v7, v6
	v_add_f32_e32 v22, v5, v8
	v_fma_f32 v20, v20, 2.0, -v10
	v_fmac_f32_e32 v7, 0xbf3504f3, v13
	v_fma_f32 v10, v10, 2.0, -v21
	v_fmac_f32_e32 v7, 0xbf3504f3, v10
	v_fma_f32 v8, v8, 2.0, -v22
	v_fma_f32 v1, v4, 2.0, -v5
	;; [unrolled: 1-line block ×4, first 2 shown]
	v_mov_b32_e32 v6, v8
	v_mov_b32_e32 v12, v16
	v_sub_f32_e32 v24, v23, v1
	v_sub_f32_e32 v17, v14, v0
	v_fmac_f32_e32 v6, 0xbf3504f3, v10
	v_fmac_f32_e32 v12, 0x3f3504f3, v33
	v_fma_f32 v1, v19, 2.0, -v32
	v_fmac_f32_e32 v6, 0x3f3504f3, v13
	v_fma_f32 v10, v23, 2.0, -v24
	v_fma_f32 v13, v14, 2.0, -v17
	v_fmac_f32_e32 v12, 0xbf3504f3, v21
	v_sub_f32_e32 v19, v20, v1
	v_sub_f32_e32 v14, v10, v13
	v_fma_f32 v3, v16, 2.0, -v12
	v_mov_b32_e32 v11, v22
	v_fma_f32 v16, v10, 2.0, -v14
	v_fma_f32 v10, v25, 2.0, -v15
	;; [unrolled: 1-line block ×3, first 2 shown]
	v_fmac_f32_e32 v11, 0x3f3504f3, v21
	v_add_f32_e32 v0, v15, v17
	v_sub_f32_e32 v13, v10, v13
	v_fmac_f32_e32 v11, 0x3f3504f3, v33
	v_sub_f32_e32 v1, v24, v19
	v_fma_f32 v4, v15, 2.0, -v0
	v_fma_f32 v8, v8, 2.0, -v6
	;; [unrolled: 1-line block ×5, first 2 shown]
	ds_write2_b64 v55, v[15:16], v[8:9] offset1:91
	v_add_u32_e32 v8, 0x400, v55
	ds_write2_b64 v8, v[4:5], v[2:3] offset0:54 offset1:145
	v_add_u32_e32 v2, 0x800, v55
	ds_write2_b64 v2, v[13:14], v[6:7] offset0:108 offset1:199
	v_add_u32_e32 v2, 0x1000, v55
	ds_write2_b64 v2, v[0:1], v[11:12] offset0:34 offset1:125
.LBB0_21:
	s_or_b64 exec, exec, s[8:9]
	s_waitcnt lgkmcnt(0)
	s_barrier
	s_and_b64 exec, exec, s[0:1]
	s_cbranch_execz .LBB0_23
; %bb.22:
	global_load_dwordx2 v[8:9], v55, s[12:13]
	global_load_dwordx2 v[10:11], v55, s[12:13] offset:448
	global_load_dwordx2 v[12:13], v55, s[12:13] offset:896
	;; [unrolled: 1-line block ×4, first 2 shown]
	ds_read_b64 v[18:19], v55
	ds_read2_b64 v[0:3], v55 offset0:56 offset1:112
	ds_read2_b64 v[4:7], v55 offset0:168 offset1:224
	global_load_dwordx2 v[24:25], v55, s[12:13] offset:2240
	global_load_dwordx2 v[26:27], v55, s[12:13] offset:2688
	v_mad_u64_u32 v[20:21], s[0:1], s6, v50, 0
	v_mad_u64_u32 v[22:23], s[2:3], s4, v56, 0
	v_mov_b32_e32 v28, s13
	s_mul_i32 s3, s5, 0x1c0
	s_mul_hi_u32 s6, s4, 0x1c0
	v_add_co_u32_e32 v32, vcc, s12, v55
	v_addc_co_u32_e32 v33, vcc, 0, v28, vcc
	s_add_i32 s3, s6, s3
	v_mad_u64_u32 v[28:29], s[6:7], s7, v50, v[21:22]
	v_mov_b32_e32 v31, s15
	s_mul_i32 s2, s4, 0x1c0
	v_mov_b32_e32 v21, v28
	v_lshlrev_b64 v[20:21], 3, v[20:21]
	v_mov_b32_e32 v34, s3
	v_add_co_u32_e32 v35, vcc, s14, v20
	v_addc_co_u32_e32 v36, vcc, v31, v21, vcc
	s_mov_b32 s0, 0x16816817
	s_mov_b32 s1, 0x3f568168
	s_waitcnt vmcnt(5) lgkmcnt(1)
	v_mul_f32_e32 v31, v1, v11
	v_mul_f32_e32 v11, v0, v11
	s_waitcnt vmcnt(3) lgkmcnt(0)
	v_mul_f32_e32 v37, v5, v15
	v_mul_f32_e32 v15, v4, v15
	v_fmac_f32_e32 v31, v0, v10
	v_fmac_f32_e32 v37, v4, v14
	s_waitcnt vmcnt(1)
	v_mad_u64_u32 v[29:30], s[6:7], s5, v56, v[23:24]
	v_mov_b32_e32 v30, s3
	v_fma_f32 v39, v14, v5, -v15
	v_mov_b32_e32 v23, v29
	v_lshlrev_b64 v[22:23], 3, v[22:23]
	v_cvt_f64_f32_e32 v[4:5], v31
	v_add_co_u32_e32 v20, vcc, v35, v22
	v_addc_co_u32_e32 v21, vcc, v36, v23, vcc
	v_add_co_u32_e32 v22, vcc, s2, v20
	v_addc_co_u32_e32 v23, vcc, v21, v30, vcc
	;; [unrolled: 2-line block ×3, first 2 shown]
	v_mul_f32_e32 v30, v19, v9
	v_mul_f32_e32 v34, v3, v13
	;; [unrolled: 1-line block ×4, first 2 shown]
	v_fmac_f32_e32 v30, v18, v8
	v_fmac_f32_e32 v34, v2, v12
	v_fma_f32 v18, v12, v3, -v13
	global_load_dwordx2 v[12:13], v55, s[12:13] offset:3136
	v_fma_f32 v8, v8, v19, -v9
	v_fma_f32 v9, v10, v1, -v11
	v_cvt_f64_f32_e32 v[0:1], v30
	v_cvt_f64_f32_e32 v[2:3], v8
	;; [unrolled: 1-line block ×5, first 2 shown]
	v_mul_f64 v[0:1], v[0:1], s[0:1]
	v_mul_f64 v[2:3], v[2:3], s[0:1]
	;; [unrolled: 1-line block ×6, first 2 shown]
	v_cvt_f64_f32_e32 v[18:19], v37
	v_cvt_f64_f32_e32 v[30:31], v39
	v_cvt_f32_f64_e32 v0, v[0:1]
	v_cvt_f32_f64_e32 v1, v[2:3]
	;; [unrolled: 1-line block ×6, first 2 shown]
	global_store_dwordx2 v[20:21], v[0:1], off
	global_store_dwordx2 v[22:23], v[2:3], off
	;; [unrolled: 1-line block ×3, first 2 shown]
	global_load_dwordx2 v[4:5], v55, s[12:13] offset:3584
	v_mul_f32_e32 v38, v7, v17
	v_mul_f32_e32 v2, v6, v17
	v_fmac_f32_e32 v38, v6, v16
	v_fma_f32 v2, v16, v7, -v2
	v_mul_f64 v[18:19], v[18:19], s[0:1]
	v_mul_f64 v[30:31], v[30:31], s[0:1]
	v_cvt_f64_f32_e32 v[0:1], v38
	v_cvt_f64_f32_e32 v[2:3], v2
	v_add_u32_e32 v22, 0x800, v55
	v_mov_b32_e32 v15, s3
	v_mul_f64 v[6:7], v[0:1], s[0:1]
	v_mul_f64 v[10:11], v[2:3], s[0:1]
	ds_read2_b64 v[0:3], v22 offset0:24 offset1:80
	v_cvt_f32_f64_e32 v8, v[18:19]
	v_cvt_f32_f64_e32 v9, v[30:31]
	v_add_co_u32_e32 v14, vcc, s2, v28
	v_addc_co_u32_e32 v15, vcc, v29, v15, vcc
	global_store_dwordx2 v[14:15], v[8:9], off
	global_load_dwordx2 v[8:9], v55, s[12:13] offset:4032
	v_cvt_f32_f64_e32 v6, v[6:7]
	v_cvt_f32_f64_e32 v7, v[10:11]
	s_waitcnt lgkmcnt(0)
	v_mul_f32_e32 v10, v1, v25
	v_fmac_f32_e32 v10, v0, v24
	v_mul_f32_e32 v0, v0, v25
	v_fma_f32 v0, v24, v1, -v0
	v_cvt_f64_f32_e32 v[10:11], v10
	v_cvt_f64_f32_e32 v[0:1], v0
	v_mov_b32_e32 v16, s3
	v_add_co_u32_e32 v14, vcc, s2, v14
	v_addc_co_u32_e32 v15, vcc, v15, v16, vcc
	s_movk_i32 s6, 0x1000
	v_mul_f64 v[10:11], v[10:11], s[0:1]
	v_mul_f64 v[0:1], v[0:1], s[0:1]
	v_add_co_u32_e32 v16, vcc, s6, v32
	v_addc_co_u32_e32 v17, vcc, 0, v33, vcc
	global_load_dwordx2 v[18:19], v[16:17], off offset:384
	v_mov_b32_e32 v24, s3
	global_store_dwordx2 v[14:15], v[6:7], off
	s_waitcnt vmcnt(9)
	v_mul_f32_e32 v6, v3, v27
	v_fmac_f32_e32 v6, v2, v26
	v_cvt_f64_f32_e32 v[6:7], v6
	v_cvt_f32_f64_e32 v10, v[10:11]
	v_cvt_f32_f64_e32 v11, v[0:1]
	v_mul_f32_e32 v1, v2, v27
	v_fma_f32 v1, v26, v3, -v1
	v_cvt_f64_f32_e32 v[20:21], v1
	v_mov_b32_e32 v0, s3
	v_mul_f64 v[6:7], v[6:7], s[0:1]
	v_add_co_u32_e32 v14, vcc, s2, v14
	v_addc_co_u32_e32 v15, vcc, v15, v0, vcc
	global_store_dwordx2 v[14:15], v[10:11], off
	v_mul_f64 v[10:11], v[20:21], s[0:1]
	global_load_dwordx2 v[20:21], v[16:17], off offset:832
	ds_read2_b64 v[0:3], v22 offset0:136 offset1:192
	v_cvt_f32_f64_e32 v6, v[6:7]
	v_add_co_u32_e32 v14, vcc, s2, v14
	v_addc_co_u32_e32 v15, vcc, v15, v24, vcc
	s_waitcnt vmcnt(10) lgkmcnt(0)
	v_mul_f32_e32 v7, v1, v13
	v_fmac_f32_e32 v7, v0, v12
	v_mul_f32_e32 v0, v0, v13
	v_fma_f32 v0, v12, v1, -v0
	global_load_dwordx2 v[12:13], v[16:17], off offset:1280
	v_cvt_f64_f32_e32 v[22:23], v7
	v_cvt_f64_f32_e32 v[0:1], v0
	v_cvt_f32_f64_e32 v7, v[10:11]
	v_or_b32_e32 v16, 0x1c0, v56
	v_mul_f64 v[10:11], v[22:23], s[0:1]
	v_mul_f64 v[0:1], v[0:1], s[0:1]
	global_store_dwordx2 v[14:15], v[6:7], off
	v_cvt_f32_f64_e32 v6, v[10:11]
	v_cvt_f32_f64_e32 v7, v[0:1]
	v_mov_b32_e32 v0, s3
	v_add_co_u32_e32 v10, vcc, s2, v14
	v_addc_co_u32_e32 v11, vcc, v15, v0, vcc
	s_waitcnt vmcnt(8)
	v_mul_f32_e32 v0, v3, v5
	v_fmac_f32_e32 v0, v2, v4
	v_mul_f32_e32 v2, v2, v5
	v_cvt_f64_f32_e32 v[0:1], v0
	v_fma_f32 v2, v4, v3, -v2
	v_cvt_f64_f32_e32 v[2:3], v2
	global_store_dwordx2 v[10:11], v[6:7], off
	v_mul_f64 v[4:5], v[0:1], s[0:1]
	v_add_u32_e32 v0, 0xc00, v55
	v_mul_f64 v[6:7], v[2:3], s[0:1]
	v_mad_u64_u32 v[14:15], s[6:7], s4, v16, 0
	ds_read2_b64 v[0:3], v0 offset0:120 offset1:176
	v_cvt_f32_f64_e32 v4, v[4:5]
	v_mov_b32_e32 v5, v15
	v_mad_u64_u32 v[15:16], s[6:7], s5, v16, v[5:6]
	s_waitcnt vmcnt(7) lgkmcnt(0)
	v_mul_f32_e32 v5, v1, v9
	v_fmac_f32_e32 v5, v0, v8
	v_mul_f32_e32 v0, v0, v9
	v_fma_f32 v0, v8, v1, -v0
	v_cvt_f64_f32_e32 v[0:1], v0
	v_cvt_f64_f32_e32 v[16:17], v5
	v_cvt_f32_f64_e32 v5, v[6:7]
	v_lshlrev_b64 v[6:7], 3, v[14:15]
	v_mul_f64 v[0:1], v[0:1], s[0:1]
	v_add_co_u32_e32 v6, vcc, v35, v6
	v_mul_f64 v[14:15], v[16:17], s[0:1]
	v_addc_co_u32_e32 v7, vcc, v36, v7, vcc
	global_store_dwordx2 v[6:7], v[4:5], off
	s_waitcnt vmcnt(7)
	v_mul_f32_e32 v5, v3, v19
	v_fmac_f32_e32 v5, v2, v18
	v_mul_f32_e32 v2, v2, v19
	v_cvt_f64_f32_e32 v[5:6], v5
	v_fma_f32 v2, v18, v3, -v2
	v_cvt_f64_f32_e32 v[2:3], v2
	v_mov_b32_e32 v7, 0x380
	v_mad_u64_u32 v[7:8], s[6:7], s4, v7, v[10:11]
	v_mul_f64 v[9:10], v[5:6], s[0:1]
	v_cvt_f32_f64_e32 v5, v[0:1]
	v_add_u32_e32 v0, 0x1000, v55
	v_cvt_f32_f64_e32 v4, v[14:15]
	v_mul_f64 v[14:15], v[2:3], s[0:1]
	ds_read2_b64 v[0:3], v0 offset0:104 offset1:160
	s_mul_i32 s4, s5, 0x380
	v_add_u32_e32 v8, s4, v8
	global_store_dwordx2 v[7:8], v[4:5], off
	v_cvt_f32_f64_e32 v4, v[9:10]
	s_waitcnt vmcnt(5) lgkmcnt(0)
	v_mul_f32_e32 v6, v1, v21
	v_fmac_f32_e32 v6, v0, v20
	v_mul_f32_e32 v0, v0, v21
	v_fma_f32 v0, v20, v1, -v0
	v_cvt_f32_f64_e32 v5, v[14:15]
	v_cvt_f64_f32_e32 v[9:10], v6
	v_cvt_f64_f32_e32 v[0:1], v0
	v_mov_b32_e32 v11, s3
	v_add_co_u32_e32 v6, vcc, s2, v7
	v_addc_co_u32_e32 v7, vcc, v8, v11, vcc
	global_store_dwordx2 v[6:7], v[4:5], off
	v_mul_f64 v[4:5], v[9:10], s[0:1]
	v_mul_f64 v[0:1], v[0:1], s[0:1]
	s_waitcnt vmcnt(5)
	v_mul_f32_e32 v8, v3, v13
	v_fmac_f32_e32 v8, v2, v12
	v_mul_f32_e32 v2, v2, v13
	v_fma_f32 v2, v12, v3, -v2
	v_cvt_f64_f32_e32 v[8:9], v8
	v_cvt_f64_f32_e32 v[2:3], v2
	v_cvt_f32_f64_e32 v4, v[4:5]
	v_cvt_f32_f64_e32 v5, v[0:1]
	v_mul_f64 v[0:1], v[8:9], s[0:1]
	v_mul_f64 v[2:3], v[2:3], s[0:1]
	v_mov_b32_e32 v8, s3
	v_add_co_u32_e32 v6, vcc, s2, v6
	v_addc_co_u32_e32 v7, vcc, v7, v8, vcc
	global_store_dwordx2 v[6:7], v[4:5], off
	v_cvt_f32_f64_e32 v0, v[0:1]
	v_cvt_f32_f64_e32 v1, v[2:3]
	v_mov_b32_e32 v3, s3
	v_add_co_u32_e32 v2, vcc, s2, v6
	v_addc_co_u32_e32 v3, vcc, v7, v3, vcc
	global_store_dwordx2 v[2:3], v[0:1], off
.LBB0_23:
	s_endpgm
	.section	.rodata,"a",@progbits
	.p2align	6, 0x0
	.amdhsa_kernel bluestein_single_fwd_len728_dim1_sp_op_CI_CI
		.amdhsa_group_segment_fixed_size 5824
		.amdhsa_private_segment_fixed_size 0
		.amdhsa_kernarg_size 104
		.amdhsa_user_sgpr_count 6
		.amdhsa_user_sgpr_private_segment_buffer 1
		.amdhsa_user_sgpr_dispatch_ptr 0
		.amdhsa_user_sgpr_queue_ptr 0
		.amdhsa_user_sgpr_kernarg_segment_ptr 1
		.amdhsa_user_sgpr_dispatch_id 0
		.amdhsa_user_sgpr_flat_scratch_init 0
		.amdhsa_user_sgpr_private_segment_size 0
		.amdhsa_uses_dynamic_stack 0
		.amdhsa_system_sgpr_private_segment_wavefront_offset 0
		.amdhsa_system_sgpr_workgroup_id_x 1
		.amdhsa_system_sgpr_workgroup_id_y 0
		.amdhsa_system_sgpr_workgroup_id_z 0
		.amdhsa_system_sgpr_workgroup_info 0
		.amdhsa_system_vgpr_workitem_id 0
		.amdhsa_next_free_vgpr 144
		.amdhsa_next_free_sgpr 20
		.amdhsa_reserve_vcc 1
		.amdhsa_reserve_flat_scratch 0
		.amdhsa_float_round_mode_32 0
		.amdhsa_float_round_mode_16_64 0
		.amdhsa_float_denorm_mode_32 3
		.amdhsa_float_denorm_mode_16_64 3
		.amdhsa_dx10_clamp 1
		.amdhsa_ieee_mode 1
		.amdhsa_fp16_overflow 0
		.amdhsa_exception_fp_ieee_invalid_op 0
		.amdhsa_exception_fp_denorm_src 0
		.amdhsa_exception_fp_ieee_div_zero 0
		.amdhsa_exception_fp_ieee_overflow 0
		.amdhsa_exception_fp_ieee_underflow 0
		.amdhsa_exception_fp_ieee_inexact 0
		.amdhsa_exception_int_div_zero 0
	.end_amdhsa_kernel
	.text
.Lfunc_end0:
	.size	bluestein_single_fwd_len728_dim1_sp_op_CI_CI, .Lfunc_end0-bluestein_single_fwd_len728_dim1_sp_op_CI_CI
                                        ; -- End function
	.section	.AMDGPU.csdata,"",@progbits
; Kernel info:
; codeLenInByte = 12064
; NumSgprs: 24
; NumVgprs: 144
; ScratchSize: 0
; MemoryBound: 0
; FloatMode: 240
; IeeeMode: 1
; LDSByteSize: 5824 bytes/workgroup (compile time only)
; SGPRBlocks: 2
; VGPRBlocks: 35
; NumSGPRsForWavesPerEU: 24
; NumVGPRsForWavesPerEU: 144
; Occupancy: 1
; WaveLimiterHint : 1
; COMPUTE_PGM_RSRC2:SCRATCH_EN: 0
; COMPUTE_PGM_RSRC2:USER_SGPR: 6
; COMPUTE_PGM_RSRC2:TRAP_HANDLER: 0
; COMPUTE_PGM_RSRC2:TGID_X_EN: 1
; COMPUTE_PGM_RSRC2:TGID_Y_EN: 0
; COMPUTE_PGM_RSRC2:TGID_Z_EN: 0
; COMPUTE_PGM_RSRC2:TIDIG_COMP_CNT: 0
	.type	__hip_cuid_2ef55ee8cd1503a0,@object ; @__hip_cuid_2ef55ee8cd1503a0
	.section	.bss,"aw",@nobits
	.globl	__hip_cuid_2ef55ee8cd1503a0
__hip_cuid_2ef55ee8cd1503a0:
	.byte	0                               ; 0x0
	.size	__hip_cuid_2ef55ee8cd1503a0, 1

	.ident	"AMD clang version 19.0.0git (https://github.com/RadeonOpenCompute/llvm-project roc-6.4.0 25133 c7fe45cf4b819c5991fe208aaa96edf142730f1d)"
	.section	".note.GNU-stack","",@progbits
	.addrsig
	.addrsig_sym __hip_cuid_2ef55ee8cd1503a0
	.amdgpu_metadata
---
amdhsa.kernels:
  - .args:
      - .actual_access:  read_only
        .address_space:  global
        .offset:         0
        .size:           8
        .value_kind:     global_buffer
      - .actual_access:  read_only
        .address_space:  global
        .offset:         8
        .size:           8
        .value_kind:     global_buffer
      - .actual_access:  read_only
        .address_space:  global
        .offset:         16
        .size:           8
        .value_kind:     global_buffer
      - .actual_access:  read_only
        .address_space:  global
        .offset:         24
        .size:           8
        .value_kind:     global_buffer
      - .actual_access:  read_only
        .address_space:  global
        .offset:         32
        .size:           8
        .value_kind:     global_buffer
      - .offset:         40
        .size:           8
        .value_kind:     by_value
      - .address_space:  global
        .offset:         48
        .size:           8
        .value_kind:     global_buffer
      - .address_space:  global
        .offset:         56
        .size:           8
        .value_kind:     global_buffer
      - .address_space:  global
        .offset:         64
        .size:           8
        .value_kind:     global_buffer
      - .address_space:  global
        .offset:         72
        .size:           8
        .value_kind:     global_buffer
      - .offset:         80
        .size:           4
        .value_kind:     by_value
      - .address_space:  global
        .offset:         88
        .size:           8
        .value_kind:     global_buffer
      - .address_space:  global
        .offset:         96
        .size:           8
        .value_kind:     global_buffer
    .group_segment_fixed_size: 5824
    .kernarg_segment_align: 8
    .kernarg_segment_size: 104
    .language:       OpenCL C
    .language_version:
      - 2
      - 0
    .max_flat_workgroup_size: 104
    .name:           bluestein_single_fwd_len728_dim1_sp_op_CI_CI
    .private_segment_fixed_size: 0
    .sgpr_count:     24
    .sgpr_spill_count: 0
    .symbol:         bluestein_single_fwd_len728_dim1_sp_op_CI_CI.kd
    .uniform_work_group_size: 1
    .uses_dynamic_stack: false
    .vgpr_count:     144
    .vgpr_spill_count: 0
    .wavefront_size: 64
amdhsa.target:   amdgcn-amd-amdhsa--gfx906
amdhsa.version:
  - 1
  - 2
...

	.end_amdgpu_metadata
